;; amdgpu-corpus repo=ROCm/rocFFT kind=compiled arch=gfx950 opt=O3
	.text
	.amdgcn_target "amdgcn-amd-amdhsa--gfx950"
	.amdhsa_code_object_version 6
	.protected	fft_rtc_back_len578_factors_17_17_2_wgs_238_tpt_34_halfLds_sp_ip_CI_unitstride_sbrr_C2R_dirReg ; -- Begin function fft_rtc_back_len578_factors_17_17_2_wgs_238_tpt_34_halfLds_sp_ip_CI_unitstride_sbrr_C2R_dirReg
	.globl	fft_rtc_back_len578_factors_17_17_2_wgs_238_tpt_34_halfLds_sp_ip_CI_unitstride_sbrr_C2R_dirReg
	.p2align	8
	.type	fft_rtc_back_len578_factors_17_17_2_wgs_238_tpt_34_halfLds_sp_ip_CI_unitstride_sbrr_C2R_dirReg,@function
fft_rtc_back_len578_factors_17_17_2_wgs_238_tpt_34_halfLds_sp_ip_CI_unitstride_sbrr_C2R_dirReg: ; @fft_rtc_back_len578_factors_17_17_2_wgs_238_tpt_34_halfLds_sp_ip_CI_unitstride_sbrr_C2R_dirReg
; %bb.0:
	s_load_dwordx2 s[8:9], s[0:1], 0x50
	s_load_dwordx4 s[4:7], s[0:1], 0x0
	s_load_dwordx2 s[10:11], s[0:1], 0x18
	v_mul_u32_u24_e32 v1, 0x788, v0
	v_lshrrev_b32_e32 v2, 16, v1
	v_mad_u64_u32 v[2:3], s[2:3], s2, 7, v[2:3]
	v_mov_b32_e32 v6, 0
	v_mov_b32_e32 v3, v6
	s_waitcnt lgkmcnt(0)
	v_cmp_lt_u64_e64 s[2:3], s[6:7], 2
	s_and_b64 vcc, exec, s[2:3]
	v_mov_b64_e32 v[4:5], 0
	v_mov_b64_e32 v[10:11], v[2:3]
	s_cbranch_vccnz .LBB0_8
; %bb.1:
	s_load_dwordx2 s[2:3], s[0:1], 0x10
	s_add_u32 s12, s10, 8
	s_addc_u32 s13, s11, 0
	s_mov_b64 s[14:15], 1
	v_mov_b64_e32 v[4:5], 0
	s_waitcnt lgkmcnt(0)
	s_add_u32 s16, s2, 8
	s_addc_u32 s17, s3, 0
	v_mov_b64_e32 v[8:9], v[2:3]
.LBB0_2:                                ; =>This Inner Loop Header: Depth=1
	s_load_dwordx2 s[18:19], s[16:17], 0x0
                                        ; implicit-def: $vgpr10_vgpr11
	s_waitcnt lgkmcnt(0)
	v_or_b32_e32 v7, s19, v9
	v_cmp_ne_u64_e32 vcc, 0, v[6:7]
	s_and_saveexec_b64 s[2:3], vcc
	s_xor_b64 s[20:21], exec, s[2:3]
	s_cbranch_execz .LBB0_4
; %bb.3:                                ;   in Loop: Header=BB0_2 Depth=1
	v_cvt_f32_u32_e32 v1, s18
	v_cvt_f32_u32_e32 v3, s19
	s_sub_u32 s2, 0, s18
	s_subb_u32 s3, 0, s19
	v_fmac_f32_e32 v1, 0x4f800000, v3
	v_rcp_f32_e32 v1, v1
	s_nop 0
	v_mul_f32_e32 v1, 0x5f7ffffc, v1
	v_mul_f32_e32 v3, 0x2f800000, v1
	v_trunc_f32_e32 v3, v3
	v_fmac_f32_e32 v1, 0xcf800000, v3
	v_cvt_u32_f32_e32 v3, v3
	v_cvt_u32_f32_e32 v1, v1
	v_mul_lo_u32 v7, s2, v3
	v_mul_hi_u32 v10, s2, v1
	v_mul_lo_u32 v11, s3, v1
	v_add_u32_e32 v7, v10, v7
	v_mul_lo_u32 v14, s2, v1
	v_add_u32_e32 v7, v7, v11
	v_mul_hi_u32 v10, v1, v14
	v_mul_hi_u32 v13, v1, v7
	v_mul_lo_u32 v12, v1, v7
	v_mov_b32_e32 v11, v6
	v_lshl_add_u64 v[10:11], v[10:11], 0, v[12:13]
	v_mul_hi_u32 v13, v3, v14
	v_mul_lo_u32 v14, v3, v14
	v_add_co_u32_e32 v10, vcc, v10, v14
	v_mul_hi_u32 v12, v3, v7
	s_nop 0
	v_addc_co_u32_e32 v10, vcc, v11, v13, vcc
	v_mov_b32_e32 v11, v6
	s_nop 0
	v_addc_co_u32_e32 v13, vcc, 0, v12, vcc
	v_mul_lo_u32 v12, v3, v7
	v_lshl_add_u64 v[10:11], v[10:11], 0, v[12:13]
	v_add_co_u32_e32 v1, vcc, v1, v10
	v_mul_hi_u32 v10, s2, v1
	s_nop 0
	v_addc_co_u32_e32 v3, vcc, v3, v11, vcc
	v_mul_lo_u32 v7, s2, v3
	v_add_u32_e32 v7, v10, v7
	v_mul_lo_u32 v10, s3, v1
	v_add_u32_e32 v7, v7, v10
	v_mul_lo_u32 v12, s2, v1
	v_mul_hi_u32 v15, v3, v12
	v_mul_lo_u32 v16, v3, v12
	v_mul_hi_u32 v11, v1, v7
	;; [unrolled: 2-line block ×3, first 2 shown]
	v_mov_b32_e32 v13, v6
	v_lshl_add_u64 v[10:11], v[12:13], 0, v[10:11]
	v_add_co_u32_e32 v10, vcc, v10, v16
	v_mul_hi_u32 v14, v3, v7
	s_nop 0
	v_addc_co_u32_e32 v10, vcc, v11, v15, vcc
	v_mul_lo_u32 v12, v3, v7
	s_nop 0
	v_addc_co_u32_e32 v13, vcc, 0, v14, vcc
	v_mov_b32_e32 v11, v6
	v_lshl_add_u64 v[10:11], v[10:11], 0, v[12:13]
	v_add_co_u32_e32 v1, vcc, v1, v10
	v_mul_hi_u32 v12, v8, v1
	s_nop 0
	v_addc_co_u32_e32 v3, vcc, v3, v11, vcc
	v_mad_u64_u32 v[10:11], s[2:3], v8, v3, 0
	v_mov_b32_e32 v13, v6
	v_lshl_add_u64 v[10:11], v[12:13], 0, v[10:11]
	v_mad_u64_u32 v[14:15], s[2:3], v9, v1, 0
	v_add_co_u32_e32 v1, vcc, v10, v14
	v_mad_u64_u32 v[12:13], s[2:3], v9, v3, 0
	s_nop 0
	v_addc_co_u32_e32 v10, vcc, v11, v15, vcc
	v_mov_b32_e32 v11, v6
	s_nop 0
	v_addc_co_u32_e32 v13, vcc, 0, v13, vcc
	v_lshl_add_u64 v[10:11], v[10:11], 0, v[12:13]
	v_mul_lo_u32 v1, s19, v10
	v_mul_lo_u32 v3, s18, v11
	v_mad_u64_u32 v[12:13], s[2:3], s18, v10, 0
	v_add3_u32 v1, v13, v3, v1
	v_sub_u32_e32 v3, v9, v1
	v_mov_b32_e32 v7, s19
	v_sub_co_u32_e32 v16, vcc, v8, v12
	v_lshl_add_u64 v[14:15], v[10:11], 0, 1
	s_nop 0
	v_subb_co_u32_e64 v3, s[2:3], v3, v7, vcc
	v_subrev_co_u32_e64 v7, s[2:3], s18, v16
	v_subb_co_u32_e32 v1, vcc, v9, v1, vcc
	s_nop 0
	v_subbrev_co_u32_e64 v3, s[2:3], 0, v3, s[2:3]
	v_cmp_le_u32_e64 s[2:3], s19, v3
	v_cmp_le_u32_e32 vcc, s19, v1
	s_nop 0
	v_cndmask_b32_e64 v12, 0, -1, s[2:3]
	v_cmp_le_u32_e64 s[2:3], s18, v7
	s_nop 1
	v_cndmask_b32_e64 v7, 0, -1, s[2:3]
	v_cmp_eq_u32_e64 s[2:3], s19, v3
	s_nop 1
	v_cndmask_b32_e64 v3, v12, v7, s[2:3]
	v_lshl_add_u64 v[12:13], v[10:11], 0, 2
	v_cmp_ne_u32_e64 s[2:3], 0, v3
	v_cndmask_b32_e64 v7, 0, -1, vcc
	v_cmp_le_u32_e32 vcc, s18, v16
	v_cndmask_b32_e64 v3, v15, v13, s[2:3]
	s_nop 0
	v_cndmask_b32_e64 v13, 0, -1, vcc
	v_cmp_eq_u32_e32 vcc, s19, v1
	s_nop 1
	v_cndmask_b32_e32 v1, v7, v13, vcc
	v_cmp_ne_u32_e32 vcc, 0, v1
	v_cndmask_b32_e64 v1, v14, v12, s[2:3]
	s_nop 0
	v_cndmask_b32_e32 v11, v11, v3, vcc
	v_cndmask_b32_e32 v10, v10, v1, vcc
.LBB0_4:                                ;   in Loop: Header=BB0_2 Depth=1
	s_andn2_saveexec_b64 s[2:3], s[20:21]
	s_cbranch_execz .LBB0_6
; %bb.5:                                ;   in Loop: Header=BB0_2 Depth=1
	v_cvt_f32_u32_e32 v1, s18
	s_sub_i32 s20, 0, s18
	v_mov_b32_e32 v11, v6
	v_rcp_iflag_f32_e32 v1, v1
	s_nop 0
	v_mul_f32_e32 v1, 0x4f7ffffe, v1
	v_cvt_u32_f32_e32 v1, v1
	v_mul_lo_u32 v3, s20, v1
	v_mul_hi_u32 v3, v1, v3
	v_add_u32_e32 v1, v1, v3
	v_mul_hi_u32 v1, v8, v1
	v_mul_lo_u32 v3, v1, s18
	v_sub_u32_e32 v3, v8, v3
	v_add_u32_e32 v7, 1, v1
	v_subrev_u32_e32 v10, s18, v3
	v_cmp_le_u32_e32 vcc, s18, v3
	s_nop 1
	v_cndmask_b32_e32 v3, v3, v10, vcc
	v_cndmask_b32_e32 v1, v1, v7, vcc
	v_add_u32_e32 v7, 1, v1
	v_cmp_le_u32_e32 vcc, s18, v3
	s_nop 1
	v_cndmask_b32_e32 v10, v1, v7, vcc
.LBB0_6:                                ;   in Loop: Header=BB0_2 Depth=1
	s_or_b64 exec, exec, s[2:3]
	v_mad_u64_u32 v[12:13], s[2:3], v10, s18, 0
	s_load_dwordx2 s[2:3], s[12:13], 0x0
	s_add_u32 s14, s14, 1
	v_mul_lo_u32 v1, v11, s18
	v_mul_lo_u32 v3, v10, s19
	s_addc_u32 s15, s15, 0
	v_add3_u32 v1, v13, v3, v1
	v_sub_co_u32_e32 v3, vcc, v8, v12
	s_add_u32 s12, s12, 8
	s_nop 0
	v_subb_co_u32_e32 v1, vcc, v9, v1, vcc
	s_addc_u32 s13, s13, 0
	v_mov_b64_e32 v[8:9], s[6:7]
	s_waitcnt lgkmcnt(0)
	v_mul_lo_u32 v1, s2, v1
	v_mul_lo_u32 v7, s3, v3
	v_mad_u64_u32 v[4:5], s[2:3], s2, v3, v[4:5]
	s_add_u32 s16, s16, 8
	v_cmp_ge_u64_e32 vcc, s[14:15], v[8:9]
	v_add3_u32 v5, v7, v5, v1
	s_addc_u32 s17, s17, 0
	s_cbranch_vccnz .LBB0_8
; %bb.7:                                ;   in Loop: Header=BB0_2 Depth=1
	v_mov_b64_e32 v[8:9], v[10:11]
	s_branch .LBB0_2
.LBB0_8:
	s_lshl_b64 s[2:3], s[6:7], 3
	s_add_u32 s2, s10, s2
	s_addc_u32 s3, s11, s3
	s_load_dwordx2 s[6:7], s[2:3], 0x0
	s_load_dwordx2 s[10:11], s[0:1], 0x20
	s_mov_b32 s2, 0x7878788
	v_mov_b32_e32 v223, 0
	s_waitcnt lgkmcnt(0)
	v_mad_u64_u32 v[4:5], s[0:1], s6, v10, v[4:5]
	v_mul_lo_u32 v1, s6, v11
	v_mul_lo_u32 v3, s7, v10
	s_mov_b32 s0, 0x24924925
	v_add3_u32 v5, v3, v5, v1
	v_mul_hi_u32 v1, v2, s0
	v_sub_u32_e32 v3, v2, v1
	v_lshrrev_b32_e32 v3, 1, v3
	v_add_u32_e32 v1, v3, v1
	v_lshrrev_b32_e32 v1, 2, v1
	v_mul_lo_u32 v1, v1, 7
	v_sub_u32_e32 v1, v2, v1
	v_mul_u32_u24_e32 v2, 0x243, v1
	v_mul_hi_u32 v1, v0, s2
	v_mul_u32_u24_e32 v1, 34, v1
	v_sub_u32_e32 v222, v0, v1
	v_lshl_add_u64 v[0:1], v[4:5], 3, s[8:9]
	v_accvgpr_write_b32 a0, v0
	v_accvgpr_write_b32 a4, v222
	v_cmp_gt_u64_e64 s[0:1], s[10:11], v[10:11]
	v_accvgpr_write_b32 a1, v1
	v_accvgpr_write_b32 a3, v2
	v_lshlrev_b32_e32 v28, 3, v2
	v_accvgpr_write_b32 a5, v223
	s_and_saveexec_b64 s[2:3], s[0:1]
	s_cbranch_execz .LBB0_12
; %bb.9:
	v_accvgpr_read_b32 v0, a0
	v_accvgpr_read_b32 v223, a5
	;; [unrolled: 1-line block ×4, first 2 shown]
	v_lshl_add_u64 v[0:1], v[222:223], 3, v[0:1]
	global_load_dwordx2 v[4:5], v[0:1], off
	global_load_dwordx2 v[6:7], v[0:1], off offset:272
	global_load_dwordx2 v[8:9], v[0:1], off offset:544
	;; [unrolled: 1-line block ×15, first 2 shown]
	v_add_co_u32_e32 v0, vcc, 0x1000, v0
	v_lshlrev_b32_e32 v2, 3, v222
	s_nop 0
	v_addc_co_u32_e32 v1, vcc, 0, v1, vcc
	global_load_dwordx2 v[0:1], v[0:1], off offset:256
	v_add3_u32 v2, 0, v28, v2
	v_add_u32_e32 v3, 0x800, v2
	v_cmp_eq_u32_e32 vcc, 33, v222
	s_waitcnt vmcnt(15)
	ds_write2_b64 v2, v[4:5], v[6:7] offset1:34
	s_waitcnt vmcnt(13)
	ds_write2_b64 v2, v[8:9], v[10:11] offset0:68 offset1:102
	s_waitcnt vmcnt(11)
	ds_write2_b64 v2, v[12:13], v[14:15] offset0:136 offset1:170
	;; [unrolled: 2-line block ×7, first 2 shown]
	s_waitcnt vmcnt(0)
	ds_write_b64 v2, v[0:1] offset:4352
	v_accvgpr_read_b32 v0, a4
	v_accvgpr_read_b32 v1, a5
	s_and_saveexec_b64 s[6:7], vcc
	s_cbranch_execz .LBB0_11
; %bb.10:
	v_accvgpr_read_b32 v0, a0
	v_accvgpr_read_b32 v1, a1
	v_add_co_u32_e32 v0, vcc, 0x1000, v0
	v_mov_b32_e32 v222, 33
	s_nop 0
	v_addc_co_u32_e32 v1, vcc, 0, v1, vcc
	global_load_dwordx2 v[0:1], v[0:1], off offset:528
	s_waitcnt vmcnt(0)
	ds_write_b64 v2, v[0:1] offset:4360
	v_mov_b64_e32 v[0:1], 33
.LBB0_11:
	s_or_b64 exec, exec, s[6:7]
	v_accvgpr_write_b32 a5, v1
	v_accvgpr_write_b32 a4, v0
.LBB0_12:
	s_or_b64 exec, exec, s[2:3]
	v_accvgpr_read_b32 v0, a3
	v_lshl_add_u32 v1, v0, 3, 0
	v_lshlrev_b32_e32 v0, 3, v222
	v_add_u32_e32 v24, v1, v0
	s_waitcnt lgkmcnt(0)
	s_barrier
	v_accvgpr_write_b32 a2, v1
	v_sub_u32_e32 v4, v1, v0
	ds_read_b32 v0, v24
	ds_read_b32 v1, v4 offset:4624
	s_add_u32 s2, s4, 0x1188
	s_addc_u32 s3, s5, 0
	v_cmp_ne_u32_e32 vcc, 0, v222
	s_waitcnt lgkmcnt(0)
	v_add_f32_e32 v2, v1, v0
	v_sub_f32_e32 v3, v0, v1
	s_and_saveexec_b64 s[6:7], vcc
	s_xor_b64 s[6:7], exec, s[6:7]
	s_cbranch_execz .LBB0_14
; %bb.13:
	v_accvgpr_read_b32 v0, a4
	v_accvgpr_read_b32 v1, a5
	v_lshl_add_u64 v[0:1], v[0:1], 3, s[2:3]
	global_load_dwordx2 v[0:1], v[0:1], off
	ds_read_b32 v5, v4 offset:4628
	ds_read_b32 v9, v24 offset:4
	v_mov_b32_e32 v6, v3
	v_mov_b32_e32 v8, v2
	;; [unrolled: 1-line block ×3, first 2 shown]
	s_waitcnt lgkmcnt(0)
	v_add_f32_e32 v7, v5, v9
	v_sub_f32_e32 v9, v9, v5
	v_mov_b32_e32 v10, v7
	s_waitcnt vmcnt(0)
	v_pk_mul_f32 v[12:13], v[6:7], v[0:1] op_sel:[0,1]
	v_pk_fma_f32 v[6:7], v[6:7], v[0:1], v[8:9] op_sel:[0,1,0]
	v_mov_b32_e32 v3, v13
	v_mov_b32_e32 v13, v9
	v_pk_fma_f32 v[14:15], v[0:1], v[10:11], v[6:7] neg_lo:[1,0,0] neg_hi:[1,0,0]
	v_pk_fma_f32 v[6:7], v[0:1], v[10:11], v[6:7] op_sel_hi:[0,1,1]
	v_pk_add_f32 v[2:3], v[2:3], v[12:13] neg_lo:[0,1] neg_hi:[0,1]
	v_mov_b32_e32 v15, v7
	v_pk_fma_f32 v[0:1], v[0:1], v[10:11], v[2:3] op_sel_hi:[0,1,1]
	ds_write_b64 v4, v[0:1] offset:4624
	v_mov_b64_e32 v[2:3], v[14:15]
.LBB0_14:
	s_andn2_saveexec_b64 s[6:7], s[6:7]
	s_cbranch_execz .LBB0_16
; %bb.15:
	v_accvgpr_read_b32 v5, a2
	ds_read_b64 v[0:1], v5 offset:2312
	s_mov_b32 s8, 2.0
	s_mov_b32 s9, -2.0
	s_waitcnt lgkmcnt(0)
	v_pk_mul_f32 v[0:1], v[0:1], s[8:9]
	ds_write_b64 v5, v[0:1] offset:2312
.LBB0_16:
	s_or_b64 exec, exec, s[6:7]
	v_mov_b32_e32 v223, 0
	v_lshl_add_u64 v[0:1], v[222:223], 3, s[2:3]
	global_load_dwordx2 v[6:7], v[0:1], off offset:272
	global_load_dwordx2 v[8:9], v[0:1], off offset:544
	;; [unrolled: 1-line block ×4, first 2 shown]
	ds_write_b64 v24, v[2:3]
	ds_read_b64 v[2:3], v4 offset:4352
	ds_read_b64 v[14:15], v24 offset:272
	global_load_dwordx2 v[16:17], v[0:1], off offset:1360
	v_cmp_gt_u32_e32 vcc, 17, v222
	s_waitcnt lgkmcnt(0)
	v_pk_add_f32 v[18:19], v[14:15], v[2:3]
	v_pk_add_f32 v[2:3], v[14:15], v[2:3] neg_lo:[0,1] neg_hi:[0,1]
	v_mov_b32_e32 v14, v19
	v_mov_b32_e32 v15, v2
	;; [unrolled: 1-line block ×3, first 2 shown]
	s_waitcnt vmcnt(4)
	v_pk_mul_f32 v[20:21], v[14:15], v[6:7] op_sel:[0,1]
	s_nop 0
	v_pk_add_f32 v[22:23], v[18:19], v[20:21] op_sel:[0,1] op_sel_hi:[1,0]
	v_mov_b32_e32 v19, v20
	v_mov_b32_e32 v2, v21
	v_pk_fma_f32 v[20:21], v[6:7], v[14:15], v[22:23] neg_lo:[1,0,0] neg_hi:[1,0,0]
	v_pk_fma_f32 v[22:23], v[6:7], v[14:15], v[22:23] op_sel_hi:[0,1,1]
	v_pk_add_f32 v[2:3], v[18:19], v[2:3] neg_lo:[0,1] neg_hi:[0,1]
	v_mov_b32_e32 v21, v23
	v_pk_fma_f32 v[2:3], v[6:7], v[14:15], v[2:3] op_sel_hi:[0,1,1]
	ds_write_b64 v24, v[20:21] offset:272
	ds_write_b64 v4, v[2:3] offset:4352
	ds_read_b64 v[2:3], v4 offset:4080
	ds_read_b64 v[6:7], v24 offset:544
	global_load_dwordx2 v[14:15], v[0:1], off offset:1632
	s_waitcnt lgkmcnt(0)
	v_pk_add_f32 v[18:19], v[6:7], v[2:3]
	v_pk_add_f32 v[2:3], v[6:7], v[2:3] neg_lo:[0,1] neg_hi:[0,1]
	v_mov_b32_e32 v6, v19
	v_mov_b32_e32 v7, v2
	;; [unrolled: 1-line block ×3, first 2 shown]
	s_waitcnt vmcnt(4)
	v_pk_mul_f32 v[20:21], v[6:7], v[8:9] op_sel:[0,1]
	s_nop 0
	v_pk_add_f32 v[22:23], v[18:19], v[20:21] op_sel:[0,1] op_sel_hi:[1,0]
	v_mov_b32_e32 v19, v20
	v_mov_b32_e32 v2, v21
	v_pk_fma_f32 v[20:21], v[8:9], v[6:7], v[22:23] neg_lo:[1,0,0] neg_hi:[1,0,0]
	v_pk_fma_f32 v[22:23], v[8:9], v[6:7], v[22:23] op_sel_hi:[0,1,1]
	v_pk_add_f32 v[2:3], v[18:19], v[2:3] neg_lo:[0,1] neg_hi:[0,1]
	v_mov_b32_e32 v21, v23
	v_pk_fma_f32 v[2:3], v[8:9], v[6:7], v[2:3] op_sel_hi:[0,1,1]
	ds_write_b64 v24, v[20:21] offset:544
	ds_write_b64 v4, v[2:3] offset:4080
	ds_read_b64 v[2:3], v4 offset:3808
	ds_read_b64 v[6:7], v24 offset:816
	global_load_dwordx2 v[8:9], v[0:1], off offset:1904
	s_waitcnt lgkmcnt(0)
	v_pk_add_f32 v[18:19], v[6:7], v[2:3]
	v_pk_add_f32 v[2:3], v[6:7], v[2:3] neg_lo:[0,1] neg_hi:[0,1]
	v_mov_b32_e32 v6, v19
	v_mov_b32_e32 v7, v2
	v_mov_b32_e32 v19, v3
	s_waitcnt vmcnt(4)
	v_pk_mul_f32 v[20:21], v[6:7], v[10:11] op_sel:[0,1]
	s_nop 0
	v_pk_add_f32 v[22:23], v[18:19], v[20:21] op_sel:[0,1] op_sel_hi:[1,0]
	v_mov_b32_e32 v19, v20
	v_mov_b32_e32 v2, v21
	v_pk_fma_f32 v[20:21], v[10:11], v[6:7], v[22:23] neg_lo:[1,0,0] neg_hi:[1,0,0]
	v_pk_fma_f32 v[22:23], v[10:11], v[6:7], v[22:23] op_sel_hi:[0,1,1]
	v_pk_add_f32 v[2:3], v[18:19], v[2:3] neg_lo:[0,1] neg_hi:[0,1]
	v_mov_b32_e32 v21, v23
	v_pk_fma_f32 v[2:3], v[10:11], v[6:7], v[2:3] op_sel_hi:[0,1,1]
	ds_write_b64 v24, v[20:21] offset:816
	ds_write_b64 v4, v[2:3] offset:3808
	ds_read_b64 v[2:3], v4 offset:3536
	ds_read_b64 v[6:7], v24 offset:1088
	s_waitcnt lgkmcnt(0)
	v_pk_add_f32 v[10:11], v[6:7], v[2:3]
	v_pk_add_f32 v[2:3], v[6:7], v[2:3] neg_lo:[0,1] neg_hi:[0,1]
	v_mov_b32_e32 v6, v11
	v_mov_b32_e32 v7, v2
	v_mov_b32_e32 v11, v3
	s_waitcnt vmcnt(3)
	v_pk_mul_f32 v[18:19], v[6:7], v[12:13] op_sel:[0,1]
	s_nop 0
	v_pk_add_f32 v[20:21], v[10:11], v[18:19] op_sel:[0,1] op_sel_hi:[1,0]
	v_mov_b32_e32 v11, v18
	v_mov_b32_e32 v2, v19
	v_pk_fma_f32 v[18:19], v[12:13], v[6:7], v[20:21] neg_lo:[1,0,0] neg_hi:[1,0,0]
	v_pk_fma_f32 v[20:21], v[12:13], v[6:7], v[20:21] op_sel_hi:[0,1,1]
	v_pk_add_f32 v[2:3], v[10:11], v[2:3] neg_lo:[0,1] neg_hi:[0,1]
	v_mov_b32_e32 v19, v21
	v_pk_fma_f32 v[2:3], v[12:13], v[6:7], v[2:3] op_sel_hi:[0,1,1]
	ds_write_b64 v24, v[18:19] offset:1088
	ds_write_b64 v4, v[2:3] offset:3536
	ds_read_b64 v[2:3], v4 offset:3264
	ds_read_b64 v[6:7], v24 offset:1360
	;; [unrolled: 21-line block ×4, first 2 shown]
	s_waitcnt lgkmcnt(0)
	v_pk_add_f32 v[10:11], v[6:7], v[2:3]
	v_pk_add_f32 v[2:3], v[6:7], v[2:3] neg_lo:[0,1] neg_hi:[0,1]
	v_mov_b32_e32 v6, v11
	v_mov_b32_e32 v7, v2
	;; [unrolled: 1-line block ×3, first 2 shown]
	s_waitcnt vmcnt(0)
	v_pk_mul_f32 v[12:13], v[6:7], v[8:9] op_sel:[0,1]
	s_nop 0
	v_pk_add_f32 v[14:15], v[10:11], v[12:13] op_sel:[0,1] op_sel_hi:[1,0]
	v_mov_b32_e32 v11, v12
	v_mov_b32_e32 v2, v13
	v_pk_fma_f32 v[12:13], v[8:9], v[6:7], v[14:15] neg_lo:[1,0,0] neg_hi:[1,0,0]
	v_pk_fma_f32 v[14:15], v[8:9], v[6:7], v[14:15] op_sel_hi:[0,1,1]
	v_pk_add_f32 v[2:3], v[10:11], v[2:3] neg_lo:[0,1] neg_hi:[0,1]
	v_mov_b32_e32 v13, v15
	v_pk_fma_f32 v[2:3], v[8:9], v[6:7], v[2:3] op_sel_hi:[0,1,1]
	ds_write_b64 v24, v[12:13] offset:1904
	ds_write_b64 v4, v[2:3] offset:2720
	s_and_saveexec_b64 s[2:3], vcc
	s_cbranch_execz .LBB0_18
; %bb.17:
	global_load_dwordx2 v[0:1], v[0:1], off offset:2176
	ds_read_b64 v[2:3], v4 offset:2448
	ds_read_b64 v[6:7], v24 offset:2176
	s_waitcnt lgkmcnt(0)
	v_pk_add_f32 v[8:9], v[6:7], v[2:3]
	v_pk_add_f32 v[2:3], v[6:7], v[2:3] neg_lo:[0,1] neg_hi:[0,1]
	v_mov_b32_e32 v6, v9
	v_mov_b32_e32 v7, v2
	;; [unrolled: 1-line block ×3, first 2 shown]
	s_waitcnt vmcnt(0)
	v_pk_mul_f32 v[10:11], v[6:7], v[0:1] op_sel:[0,1]
	s_nop 0
	v_pk_add_f32 v[12:13], v[8:9], v[10:11] op_sel:[0,1] op_sel_hi:[1,0]
	v_mov_b32_e32 v9, v10
	v_mov_b32_e32 v2, v11
	v_pk_fma_f32 v[10:11], v[0:1], v[6:7], v[12:13] neg_lo:[1,0,0] neg_hi:[1,0,0]
	v_pk_fma_f32 v[12:13], v[0:1], v[6:7], v[12:13] op_sel_hi:[0,1,1]
	v_pk_add_f32 v[2:3], v[8:9], v[2:3] neg_lo:[0,1] neg_hi:[0,1]
	v_mov_b32_e32 v11, v13
	v_pk_fma_f32 v[0:1], v[0:1], v[6:7], v[2:3] op_sel_hi:[0,1,1]
	ds_write_b64 v24, v[10:11] offset:2176
	ds_write_b64 v4, v[0:1] offset:2448
.LBB0_18:
	s_or_b64 exec, exec, s[2:3]
	v_lshl_add_u32 v0, v222, 3, 0
	v_add_u32_e32 v2, v0, v28
	v_accvgpr_write_b32 a6, v0
	v_add_u32_e32 v0, 0x400, v2
	s_waitcnt lgkmcnt(0)
	s_barrier
	s_barrier
	ds_read2_b64 v[8:11], v0 offset0:110 offset1:144
	v_accvgpr_write_b32 a9, v0
	v_add_u32_e32 v0, 0x800, v2
	ds_read2_b64 v[4:7], v2 offset0:34 offset1:68
	ds_read2_b64 v[12:15], v0 offset0:50 offset1:84
	ds_read2_b64 v[16:19], v0 offset0:118 offset1:152
	ds_read2_b64 v[20:23], v0 offset0:186 offset1:220
	v_accvgpr_write_b32 a7, v0
	ds_read_b64 v[0:1], v24
	v_add_u32_e32 v3, 0xc00, v2
	v_accvgpr_write_b32 a8, v24
	ds_read2_b64 v[24:27], v2 offset0:102 offset1:136
	ds_read2_b64 v[34:37], v3 offset0:126 offset1:160
	;; [unrolled: 1-line block ×3, first 2 shown]
	v_accvgpr_write_b32 a11, v3
	v_accvgpr_write_b32 a10, v2
	s_waitcnt lgkmcnt(3)
	v_pk_add_f32 v[2:3], v[0:1], v[4:5]
	s_waitcnt lgkmcnt(1)
	v_pk_add_f32 v[74:75], v[4:5], v[36:37] neg_lo:[0,1] neg_hi:[0,1]
	v_pk_add_f32 v[2:3], v[2:3], v[6:7]
	s_mov_b32 s22, 0xbeb8f4ab
	v_pk_add_f32 v[2:3], v[2:3], v[24:25]
	v_pk_add_f32 v[72:73], v[36:37], v[4:5]
	;; [unrolled: 1-line block ×3, first 2 shown]
	s_mov_b32 s6, 0x3f6eb680
	s_waitcnt lgkmcnt(0)
	v_pk_add_f32 v[2:3], v[2:3], v[38:39]
	v_pk_mul_f32 v[4:5], v[74:75], s[22:23] op_sel_hi:[1,0]
	v_pk_add_f32 v[2:3], v[2:3], v[40:41]
	v_pk_add_f32 v[80:81], v[6:7], v[34:35] neg_lo:[0,1] neg_hi:[0,1]
	v_pk_add_f32 v[2:3], v[2:3], v[8:9]
	s_mov_b32 s30, 0xbf2c7751
	v_pk_add_f32 v[2:3], v[2:3], v[10:11]
	v_pk_fma_f32 v[46:47], v[72:73], s[6:7], v[4:5] op_sel:[0,0,1] op_sel_hi:[1,0,0] neg_lo:[0,0,1] neg_hi:[0,0,1]
	v_pk_add_f32 v[2:3], v[2:3], v[12:13]
	v_pk_add_f32 v[76:77], v[34:35], v[6:7]
	;; [unrolled: 1-line block ×3, first 2 shown]
	s_mov_b32 s8, 0x3f3d2fb0
	v_pk_add_f32 v[2:3], v[2:3], v[16:17]
	v_pk_add_f32 v[86:87], v[24:25], v[22:23] neg_lo:[0,1] neg_hi:[0,1]
	v_pk_add_f32 v[2:3], v[2:3], v[18:19]
	s_mov_b32 s44, 0xbf65296c
	v_pk_add_f32 v[2:3], v[2:3], v[20:21]
	v_pk_add_f32 v[82:83], v[22:23], v[24:25]
	v_pk_add_f32 v[2:3], v[2:3], v[22:23]
	v_pk_add_f32 v[132:133], v[12:13], v[10:11]
	v_pk_add_f32 v[2:3], v[2:3], v[34:35]
	v_pk_mul_f32 v[34:35], v[80:81], s[30:31] op_sel_hi:[1,0]
	v_pk_add_f32 v[2:3], v[2:3], v[36:37]
	v_pk_fma_f32 v[36:37], v[72:73], s[6:7], v[4:5] op_sel:[0,0,1] op_sel_hi:[1,0,0]
	v_pk_add_f32 v[134:135], v[10:11], v[12:13] neg_lo:[0,1] neg_hi:[0,1]
	v_accvgpr_write_b32 a13, v37
	v_mov_b32_e32 v37, v47
	v_pk_fma_f32 v[10:11], v[76:77], s[8:9], v[34:35] op_sel:[0,0,1] op_sel_hi:[1,0,0]
	v_pk_fma_f32 v[42:43], v[76:77], s[8:9], v[34:35] op_sel:[0,0,1] op_sel_hi:[1,0,0] neg_lo:[0,0,1] neg_hi:[0,0,1]
	s_mov_b32 s14, 0x3ee437d1
	v_pk_mul_f32 v[12:13], v[86:87], s[44:45] op_sel_hi:[1,0]
	v_pk_add_f32 v[36:37], v[0:1], v[36:37]
	v_pk_add_f32 v[112:113], v[16:17], v[40:41]
	v_pk_add_f32 v[118:119], v[40:41], v[16:17] neg_lo:[0,1] neg_hi:[0,1]
	v_accvgpr_write_b32 a15, v11
	v_mov_b32_e32 v11, v43
	v_pk_fma_f32 v[16:17], v[82:83], s[14:15], v[12:13] op_sel:[0,0,1] op_sel_hi:[1,0,0]
	v_pk_fma_f32 v[12:13], v[82:83], s[14:15], v[12:13] op_sel:[0,0,1] op_sel_hi:[1,0,0] neg_lo:[0,0,1] neg_hi:[0,0,1]
	v_pk_add_f32 v[98:99], v[26:27], v[20:21] neg_lo:[0,1] neg_hi:[0,1]
	v_pk_add_f32 v[124:125], v[14:15], v[8:9]
	v_pk_add_f32 v[130:131], v[8:9], v[14:15] neg_lo:[0,1] neg_hi:[0,1]
	v_pk_add_f32 v[14:15], v[10:11], v[36:37]
	v_accvgpr_write_b32 a17, v17
	v_mov_b32_e32 v17, v13
	s_mov_b32 s38, 0xbf7ee86f
	v_pk_add_f32 v[92:93], v[20:21], v[26:27]
	v_pk_add_f32 v[104:105], v[18:19], v[38:39]
	v_pk_add_f32 v[106:107], v[38:39], v[18:19] neg_lo:[0,1] neg_hi:[0,1]
	v_pk_add_f32 v[18:19], v[16:17], v[14:15]
	s_mov_b32 s10, 0x3dbcf732
	v_pk_mul_f32 v[16:17], v[98:99], s[38:39] op_sel_hi:[1,0]
	s_mov_b32 s24, 0xbf763a35
	v_pk_fma_f32 v[14:15], v[92:93], s[10:11], v[16:17] op_sel:[0,0,1] op_sel_hi:[1,0,0]
	v_pk_fma_f32 v[16:17], v[92:93], s[10:11], v[16:17] op_sel:[0,0,1] op_sel_hi:[1,0,0] neg_lo:[0,0,1] neg_hi:[0,0,1]
	v_mov_b32_e32 v20, v14
	v_mov_b32_e32 v21, v17
	v_pk_add_f32 v[22:23], v[20:21], v[18:19]
	s_mov_b32 s20, 0xbe8c1d8e
	v_pk_mul_f32 v[20:21], v[106:107], s[24:25] op_sel_hi:[1,0]
	s_mov_b32 s26, 0xbf4c4adb
	v_pk_fma_f32 v[24:25], v[104:105], s[20:21], v[20:21] op_sel:[0,0,1] op_sel_hi:[1,0,0]
	v_pk_fma_f32 v[20:21], v[104:105], s[20:21], v[20:21] op_sel:[0,0,1] op_sel_hi:[1,0,0] neg_lo:[0,0,1] neg_hi:[0,0,1]
	v_accvgpr_write_b32 a19, v25
	v_mov_b32_e32 v25, v21
	v_pk_add_f32 v[26:27], v[24:25], v[22:23]
	s_mov_b32 s16, 0xbf1a4643
	v_pk_mul_f32 v[24:25], v[118:119], s[26:27] op_sel_hi:[1,0]
	s_mov_b32 s28, 0xbf06c442
	v_pk_fma_f32 v[34:35], v[112:113], s[16:17], v[24:25] op_sel:[0,0,1] op_sel_hi:[1,0,0]
	v_pk_fma_f32 v[24:25], v[112:113], s[16:17], v[24:25] op_sel:[0,0,1] op_sel_hi:[1,0,0] neg_lo:[0,0,1] neg_hi:[0,0,1]
	v_accvgpr_write_b32 a21, v35
	v_mov_b32_e32 v35, v25
	v_pk_add_f32 v[36:37], v[34:35], v[26:27]
	s_mov_b32 s12, 0xbf59a7d5
	v_pk_mul_f32 v[34:35], v[130:131], s[28:29] op_sel_hi:[1,0]
	s_mov_b32 s34, 0xbe3c28d5
	v_pk_fma_f32 v[30:31], v[124:125], s[12:13], v[34:35] op_sel:[0,0,1] op_sel_hi:[1,0,0]
	v_pk_fma_f32 v[34:35], v[124:125], s[12:13], v[34:35] op_sel:[0,0,1] op_sel_hi:[1,0,0] neg_lo:[0,0,1] neg_hi:[0,0,1]
	v_mov_b32_e32 v38, v30
	v_mov_b32_e32 v39, v35
	v_pk_add_f32 v[40:41], v[38:39], v[36:37]
	s_mov_b32 s18, 0xbf7ba420
	v_pk_mul_f32 v[38:39], v[134:135], s[34:35] op_sel_hi:[1,0]
	v_mul_u32_u24_e32 v4, 0x88, v222
	v_pk_fma_f32 v[36:37], v[132:133], s[18:19], v[38:39] op_sel:[0,0,1] op_sel_hi:[1,0,0]
	v_pk_fma_f32 v[38:39], v[132:133], s[18:19], v[38:39] op_sel:[0,0,1] op_sel_hi:[1,0,0] neg_lo:[0,0,1] neg_hi:[0,0,1]
	v_mov_b32_e32 v44, v36
	v_mov_b32_e32 v45, v39
	v_pk_add_f32 v[40:41], v[44:45], v[40:41]
	v_add3_u32 v14, 0, v4, v28
	s_barrier
	ds_write2_b64 v14, v[2:3], v[40:41] offset1:1
	v_pk_mul_f32 v[40:41], v[74:75], s[30:31] op_sel_hi:[1,0]
	s_mov_b32 s52, 0x3f06c442
	v_pk_fma_f32 v[26:27], v[72:73], s[8:9], v[40:41] op_sel:[0,0,1] op_sel_hi:[1,0,0]
	v_pk_fma_f32 v[40:41], v[72:73], s[8:9], v[40:41] op_sel:[0,0,1] op_sel_hi:[1,0,0] neg_lo:[0,0,1] neg_hi:[0,0,1]
	v_mov_b32_e32 v44, v26
	v_mov_b32_e32 v45, v41
	v_pk_add_f32 v[48:49], v[0:1], v[44:45]
	v_pk_mul_f32 v[44:45], v[80:81], s[38:39] op_sel_hi:[1,0]
	s_mov_b32 s48, 0x3f763a35
	v_pk_fma_f32 v[22:23], v[76:77], s[10:11], v[44:45] op_sel:[0,0,1] op_sel_hi:[1,0,0]
	v_pk_fma_f32 v[44:45], v[76:77], s[10:11], v[44:45] op_sel:[0,0,1] op_sel_hi:[1,0,0] neg_lo:[0,0,1] neg_hi:[0,0,1]
	v_mov_b32_e32 v50, v22
	v_mov_b32_e32 v51, v45
	v_pk_add_f32 v[52:53], v[50:51], v[48:49]
	;; [unrolled: 7-line block ×8, first 2 shown]
	v_pk_mul_f32 v[78:79], v[74:75], s[44:45] op_sel_hi:[1,0]
	v_pk_mul_f32 v[216:217], v[80:81], s[48:49] op_sel_hi:[1,0]
	v_pk_fma_f32 v[84:85], v[72:73], s[14:15], v[78:79] op_sel:[0,0,1] op_sel_hi:[1,0,0]
	v_pk_fma_f32 v[78:79], v[72:73], s[14:15], v[78:79] op_sel:[0,0,1] op_sel_hi:[1,0,0] neg_lo:[0,0,1] neg_hi:[0,0,1]
	v_mov_b32_e32 v88, v84
	v_mov_b32_e32 v89, v79
	v_pk_add_f32 v[94:95], v[0:1], v[88:89]
	v_pk_mul_f32 v[88:89], v[80:81], s[26:27] op_sel_hi:[1,0]
	v_pk_fma_f32 v[200:201], v[76:77], s[20:21], v[216:217] op_sel:[0,0,1] op_sel_hi:[1,0,0]
	v_pk_fma_f32 v[18:19], v[76:77], s[16:17], v[88:89] op_sel:[0,0,1] op_sel_hi:[1,0,0]
	v_pk_fma_f32 v[88:89], v[76:77], s[16:17], v[88:89] op_sel:[0,0,1] op_sel_hi:[1,0,0] neg_lo:[0,0,1] neg_hi:[0,0,1]
	v_mov_b32_e32 v96, v18
	v_mov_b32_e32 v97, v89
	v_pk_add_f32 v[100:101], v[96:97], v[94:95]
	v_pk_mul_f32 v[96:97], v[86:87], s[54:55] op_sel_hi:[1,0]
	v_pk_fma_f32 v[216:217], v[76:77], s[20:21], v[216:217] op_sel:[0,0,1] op_sel_hi:[1,0,0] neg_lo:[0,0,1] neg_hi:[0,0,1]
	v_pk_fma_f32 v[94:95], v[82:83], s[18:19], v[96:97] op_sel:[0,0,1] op_sel_hi:[1,0,0]
	v_pk_fma_f32 v[96:97], v[82:83], s[18:19], v[96:97] op_sel:[0,0,1] op_sel_hi:[1,0,0] neg_lo:[0,0,1] neg_hi:[0,0,1]
	v_mov_b32_e32 v102, v94
	v_mov_b32_e32 v103, v97
	v_pk_add_f32 v[108:109], v[102:103], v[100:101]
	v_pk_mul_f32 v[102:103], v[98:99], s[48:49] op_sel_hi:[1,0]
	v_mov_b32_e32 v220, v200
	v_pk_fma_f32 v[100:101], v[92:93], s[20:21], v[102:103] op_sel:[0,0,1] op_sel_hi:[1,0,0]
	v_pk_fma_f32 v[102:103], v[92:93], s[20:21], v[102:103] op_sel:[0,0,1] op_sel_hi:[1,0,0] neg_lo:[0,0,1] neg_hi:[0,0,1]
	v_mov_b32_e32 v110, v100
	v_mov_b32_e32 v111, v103
	v_pk_add_f32 v[114:115], v[110:111], v[108:109]
	v_pk_mul_f32 v[110:111], v[106:107], s[42:43] op_sel_hi:[1,0]
	v_mov_b32_e32 v221, v217
	v_pk_fma_f32 v[108:109], v[104:105], s[8:9], v[110:111] op_sel:[0,0,1] op_sel_hi:[1,0,0]
	v_pk_fma_f32 v[110:111], v[104:105], s[8:9], v[110:111] op_sel:[0,0,1] op_sel_hi:[1,0,0] neg_lo:[0,0,1] neg_hi:[0,0,1]
	v_mov_b32_e32 v116, v108
	v_mov_b32_e32 v117, v111
	v_pk_add_f32 v[120:121], v[116:117], v[114:115]
	v_pk_mul_f32 v[116:117], v[118:119], s[22:23] op_sel_hi:[1,0]
	v_pk_mul_f32 v[250:251], v[80:81], s[36:37] op_sel_hi:[1,0]
	v_pk_fma_f32 v[114:115], v[112:113], s[6:7], v[116:117] op_sel:[0,0,1] op_sel_hi:[1,0,0]
	v_pk_fma_f32 v[116:117], v[112:113], s[6:7], v[116:117] op_sel:[0,0,1] op_sel_hi:[1,0,0] neg_lo:[0,0,1] neg_hi:[0,0,1]
	v_mov_b32_e32 v122, v114
	v_mov_b32_e32 v123, v117
	v_pk_add_f32 v[126:127], v[122:123], v[120:121]
	v_pk_mul_f32 v[122:123], v[130:131], s[38:39] op_sel_hi:[1,0]
	v_pk_fma_f32 v[252:253], v[76:77], s[14:15], v[250:251] op_sel:[0,0,1] op_sel_hi:[1,0,0]
	v_pk_fma_f32 v[120:121], v[124:125], s[10:11], v[122:123] op_sel:[0,0,1] op_sel_hi:[1,0,0]
	v_pk_fma_f32 v[122:123], v[124:125], s[10:11], v[122:123] op_sel:[0,0,1] op_sel_hi:[1,0,0] neg_lo:[0,0,1] neg_hi:[0,0,1]
	v_mov_b32_e32 v128, v120
	v_mov_b32_e32 v129, v123
	v_pk_add_f32 v[138:139], v[128:129], v[126:127]
	v_pk_mul_f32 v[128:129], v[134:135], s[28:29] op_sel_hi:[1,0]
	v_pk_fma_f32 v[250:251], v[76:77], s[14:15], v[250:251] op_sel:[0,0,1] op_sel_hi:[1,0,0] neg_lo:[0,0,1] neg_hi:[0,0,1]
	v_pk_fma_f32 v[126:127], v[132:133], s[12:13], v[128:129] op_sel:[0,0,1] op_sel_hi:[1,0,0]
	v_pk_fma_f32 v[128:129], v[132:133], s[12:13], v[128:129] op_sel:[0,0,1] op_sel_hi:[1,0,0] neg_lo:[0,0,1] neg_hi:[0,0,1]
	v_mov_b32_e32 v140, v126
	v_mov_b32_e32 v141, v129
	v_pk_add_f32 v[138:139], v[140:141], v[138:139]
	ds_write2_b64 v14, v[136:137], v[138:139] offset0:2 offset1:3
	v_pk_mul_f32 v[136:137], v[74:75], s[38:39] op_sel_hi:[1,0]
	v_mov_b32_e32 v254, v252
	v_pk_fma_f32 v[138:139], v[72:73], s[10:11], v[136:137] op_sel:[0,0,1] op_sel_hi:[1,0,0]
	v_pk_fma_f32 v[136:137], v[72:73], s[10:11], v[136:137] op_sel:[0,0,1] op_sel_hi:[1,0,0] neg_lo:[0,0,1] neg_hi:[0,0,1]
	v_mov_b32_e32 v140, v138
	v_mov_b32_e32 v141, v137
	v_pk_add_f32 v[144:145], v[0:1], v[140:141]
	v_pk_mul_f32 v[140:141], v[80:81], s[34:35] op_sel_hi:[1,0]
	v_mov_b32_e32 v255, v251
	v_pk_fma_f32 v[10:11], v[76:77], s[18:19], v[140:141] op_sel:[0,0,1] op_sel_hi:[1,0,0]
	v_pk_fma_f32 v[140:141], v[76:77], s[18:19], v[140:141] op_sel:[0,0,1] op_sel_hi:[1,0,0] neg_lo:[0,0,1] neg_hi:[0,0,1]
	v_mov_b32_e32 v146, v10
	v_mov_b32_e32 v147, v141
	v_pk_add_f32 v[148:149], v[146:147], v[144:145]
	;; [unrolled: 7-line block ×16, first 2 shown]
	ds_write2_b64 v14, v[210:211], v[212:213] offset0:4 offset1:5
	v_pk_mul_f32 v[210:211], v[74:75], s[26:27] op_sel_hi:[1,0]
	v_mov_b32_e32 v159, v157
	v_pk_fma_f32 v[212:213], v[72:73], s[16:17], v[210:211] op_sel:[0,0,1] op_sel_hi:[1,0,0]
	v_pk_fma_f32 v[210:211], v[72:73], s[16:17], v[210:211] op_sel:[0,0,1] op_sel_hi:[1,0,0] neg_lo:[0,0,1] neg_hi:[0,0,1]
	v_mov_b32_e32 v214, v212
	v_mov_b32_e32 v215, v211
	v_pk_add_f32 v[214:215], v[0:1], v[214:215]
	v_mov_b32_e32 v211, v213
	v_pk_add_f32 v[214:215], v[220:221], v[214:215]
	v_pk_mul_f32 v[220:221], v[86:87], s[22:23] op_sel_hi:[1,0]
	v_mov_b32_e32 v195, v193
	v_pk_fma_f32 v[218:219], v[82:83], s[6:7], v[220:221] op_sel:[0,0,1] op_sel_hi:[1,0,0]
	v_pk_fma_f32 v[220:221], v[82:83], s[6:7], v[220:221] op_sel:[0,0,1] op_sel_hi:[1,0,0] neg_lo:[0,0,1] neg_hi:[0,0,1]
	v_mov_b32_e32 v224, v218
	v_mov_b32_e32 v225, v221
	v_pk_add_f32 v[214:215], v[224:225], v[214:215]
	v_pk_mul_f32 v[224:225], v[98:99], s[28:29] op_sel_hi:[1,0]
	v_mov_b32_e32 v221, v219
	v_pk_fma_f32 v[226:227], v[92:93], s[12:13], v[224:225] op_sel:[0,0,1] op_sel_hi:[1,0,0]
	v_pk_fma_f32 v[224:225], v[92:93], s[12:13], v[224:225] op_sel:[0,0,1] op_sel_hi:[1,0,0] neg_lo:[0,0,1] neg_hi:[0,0,1]
	v_mov_b32_e32 v228, v226
	;; [unrolled: 7-line block ×7, first 2 shown]
	v_mov_b32_e32 v249, v245
	v_pk_add_f32 v[248:249], v[0:1], v[248:249]
	v_mov_b32_e32 v245, v247
	v_pk_add_f32 v[248:249], v[254:255], v[248:249]
	v_pk_mul_f32 v[254:255], v[86:87], s[38:39] op_sel_hi:[1,0]
	v_mov_b32_e32 v163, v161
	v_pk_fma_f32 v[32:33], v[82:83], s[10:11], v[254:255] op_sel:[0,0,1] op_sel_hi:[1,0,0]
	v_pk_fma_f32 v[254:255], v[82:83], s[10:11], v[254:255] op_sel:[0,0,1] op_sel_hi:[1,0,0] neg_lo:[0,0,1] neg_hi:[0,0,1]
	v_mov_b32_e32 v202, v32
	v_mov_b32_e32 v203, v255
	v_pk_add_f32 v[202:203], v[202:203], v[248:249]
	v_pk_mul_f32 v[248:249], v[98:99], s[50:51] op_sel_hi:[1,0]
	v_mov_b32_e32 v255, v33
	v_pk_fma_f32 v[206:207], v[92:93], s[16:17], v[248:249] op_sel:[0,0,1] op_sel_hi:[1,0,0]
	v_pk_fma_f32 v[248:249], v[92:93], s[16:17], v[248:249] op_sel:[0,0,1] op_sel_hi:[1,0,0] neg_lo:[0,0,1] neg_hi:[0,0,1]
	v_mov_b32_e32 v208, v206
	v_mov_b32_e32 v209, v249
	v_pk_add_f32 v[202:203], v[208:209], v[202:203]
	v_pk_mul_f32 v[208:209], v[106:107], s[22:23] op_sel_hi:[1,0]
	v_mov_b32_e32 v249, v207
	v_pk_fma_f32 v[28:29], v[104:105], s[6:7], v[208:209] op_sel:[0,0,1] op_sel_hi:[1,0,0]
	v_pk_fma_f32 v[208:209], v[104:105], s[6:7], v[208:209] op_sel:[0,0,1] op_sel_hi:[1,0,0] neg_lo:[0,0,1] neg_hi:[0,0,1]
	v_mov_b32_e32 v90, v28
	v_mov_b32_e32 v91, v209
	v_pk_add_f32 v[90:91], v[90:91], v[202:203]
	v_pk_mul_f32 v[202:203], v[118:119], s[34:35] op_sel_hi:[1,0]
	v_mov_b32_e32 v209, v29
	v_pk_fma_f32 v[142:143], v[112:113], s[18:19], v[202:203] op_sel:[0,0,1] op_sel_hi:[1,0,0]
	v_pk_fma_f32 v[202:203], v[112:113], s[18:19], v[202:203] op_sel:[0,0,1] op_sel_hi:[1,0,0] neg_lo:[0,0,1] neg_hi:[0,0,1]
	v_mov_b32_e32 v204, v142
	v_mov_b32_e32 v205, v203
	v_pk_add_f32 v[90:91], v[204:205], v[90:91]
	v_pk_mul_f32 v[204:205], v[130:131], s[42:43] op_sel_hi:[1,0]
	v_mov_b32_e32 v203, v143
	v_pk_fma_f32 v[8:9], v[124:125], s[8:9], v[204:205] op_sel:[0,0,1] op_sel_hi:[1,0,0]
	v_pk_fma_f32 v[204:205], v[124:125], s[8:9], v[204:205] op_sel:[0,0,1] op_sel_hi:[1,0,0] neg_lo:[0,0,1] neg_hi:[0,0,1]
	v_mov_b32_e32 v2, v8
	v_mov_b32_e32 v3, v205
	v_pk_add_f32 v[2:3], v[2:3], v[90:91]
	v_pk_mul_f32 v[90:91], v[134:135], s[24:25] op_sel_hi:[1,0]
	v_mov_b32_e32 v205, v9
	v_pk_fma_f32 v[6:7], v[132:133], s[20:21], v[90:91] op_sel:[0,0,1] op_sel_hi:[1,0,0]
	v_pk_fma_f32 v[90:91], v[132:133], s[20:21], v[90:91] op_sel:[0,0,1] op_sel_hi:[1,0,0] neg_lo:[0,0,1] neg_hi:[0,0,1]
	v_mov_b32_e32 v4, v6
	v_mov_b32_e32 v5, v91
	v_pk_add_f32 v[2:3], v[4:5], v[2:3]
	ds_write2_b64 v14, v[214:215], v[2:3] offset0:6 offset1:7
	v_pk_mul_f32 v[2:3], v[74:75], s[34:35] op_sel_hi:[1,0]
	v_mov_b32_e32 v91, v7
	v_pk_fma_f32 v[4:5], v[72:73], s[18:19], v[2:3] op_sel:[0,0,1] op_sel_hi:[1,0,0]
	v_pk_fma_f32 v[2:3], v[72:73], s[18:19], v[2:3] op_sel:[0,0,1] op_sel_hi:[1,0,0] neg_lo:[0,0,1] neg_hi:[0,0,1]
	v_pk_mul_f32 v[72:73], v[80:81], s[40:41] op_sel_hi:[1,0]
	v_mov_b32_e32 v199, v197
	v_pk_fma_f32 v[74:75], v[76:77], s[6:7], v[72:73] op_sel:[0,0,1] op_sel_hi:[1,0,0]
	v_pk_fma_f32 v[72:73], v[76:77], s[6:7], v[72:73] op_sel:[0,0,1] op_sel_hi:[1,0,0] neg_lo:[0,0,1] neg_hi:[0,0,1]
	v_mov_b32_e32 v76, v4
	v_mov_b32_e32 v77, v3
	v_pk_add_f32 v[76:77], v[0:1], v[76:77]
	v_mov_b32_e32 v80, v74
	v_mov_b32_e32 v81, v73
	v_pk_add_f32 v[76:77], v[80:81], v[76:77]
	v_pk_mul_f32 v[80:81], v[86:87], s[28:29] op_sel_hi:[1,0]
	v_mov_b32_e32 v3, v5
	v_pk_fma_f32 v[86:87], v[82:83], s[12:13], v[80:81] op_sel:[0,0,1] op_sel_hi:[1,0,0]
	v_pk_fma_f32 v[80:81], v[82:83], s[12:13], v[80:81] op_sel:[0,0,1] op_sel_hi:[1,0,0] neg_lo:[0,0,1] neg_hi:[0,0,1]
	v_mov_b32_e32 v82, v86
	v_mov_b32_e32 v83, v81
	v_pk_add_f32 v[76:77], v[82:83], v[76:77]
	v_pk_mul_f32 v[82:83], v[98:99], s[42:43] op_sel_hi:[1,0]
	v_mov_b32_e32 v73, v75
	v_pk_fma_f32 v[98:99], v[92:93], s[8:9], v[82:83] op_sel:[0,0,1] op_sel_hi:[1,0,0]
	v_pk_fma_f32 v[82:83], v[92:93], s[8:9], v[82:83] op_sel:[0,0,1] op_sel_hi:[1,0,0] neg_lo:[0,0,1] neg_hi:[0,0,1]
	v_mov_b32_e32 v92, v98
	v_mov_b32_e32 v93, v83
	v_pk_add_f32 v[76:77], v[92:93], v[76:77]
	v_pk_mul_f32 v[92:93], v[106:107], s[26:27] op_sel_hi:[1,0]
	v_pk_add_f32 v[2:3], v[0:1], v[2:3]
	v_pk_fma_f32 v[106:107], v[104:105], s[16:17], v[92:93] op_sel:[0,0,1] op_sel_hi:[1,0,0]
	v_pk_fma_f32 v[92:93], v[104:105], s[16:17], v[92:93] op_sel:[0,0,1] op_sel_hi:[1,0,0] neg_lo:[0,0,1] neg_hi:[0,0,1]
	v_mov_b32_e32 v104, v106
	v_mov_b32_e32 v105, v93
	v_pk_add_f32 v[76:77], v[104:105], v[76:77]
	v_pk_mul_f32 v[104:105], v[118:119], s[36:37] op_sel_hi:[1,0]
	v_pk_add_f32 v[2:3], v[72:73], v[2:3]
	v_pk_fma_f32 v[118:119], v[112:113], s[14:15], v[104:105] op_sel:[0,0,1] op_sel_hi:[1,0,0]
	v_pk_fma_f32 v[104:105], v[112:113], s[14:15], v[104:105] op_sel:[0,0,1] op_sel_hi:[1,0,0] neg_lo:[0,0,1] neg_hi:[0,0,1]
	v_mov_b32_e32 v112, v118
	v_mov_b32_e32 v113, v105
	v_pk_add_f32 v[76:77], v[112:113], v[76:77]
	v_pk_mul_f32 v[112:113], v[130:131], s[24:25] op_sel_hi:[1,0]
	v_mov_b32_e32 v81, v87
	v_pk_fma_f32 v[130:131], v[124:125], s[20:21], v[112:113] op_sel:[0,0,1] op_sel_hi:[1,0,0]
	v_pk_fma_f32 v[112:113], v[124:125], s[20:21], v[112:113] op_sel:[0,0,1] op_sel_hi:[1,0,0] neg_lo:[0,0,1] neg_hi:[0,0,1]
	v_pk_add_f32 v[2:3], v[80:81], v[2:3]
	v_mov_b32_e32 v83, v99
	v_mov_b32_e32 v124, v130
	;; [unrolled: 1-line block ×3, first 2 shown]
	v_pk_add_f32 v[2:3], v[82:83], v[2:3]
	v_mov_b32_e32 v93, v107
	v_pk_add_f32 v[76:77], v[124:125], v[76:77]
	v_pk_mul_f32 v[124:125], v[134:135], s[46:47] op_sel_hi:[1,0]
	v_pk_add_f32 v[2:3], v[92:93], v[2:3]
	v_mov_b32_e32 v105, v119
	v_pk_fma_f32 v[134:135], v[132:133], s[10:11], v[124:125] op_sel:[0,0,1] op_sel_hi:[1,0,0]
	v_pk_fma_f32 v[124:125], v[132:133], s[10:11], v[124:125] op_sel:[0,0,1] op_sel_hi:[1,0,0] neg_lo:[0,0,1] neg_hi:[0,0,1]
	v_pk_add_f32 v[2:3], v[104:105], v[2:3]
	v_mov_b32_e32 v113, v131
	v_mov_b32_e32 v132, v134
	;; [unrolled: 1-line block ×3, first 2 shown]
	v_pk_add_f32 v[2:3], v[112:113], v[2:3]
	v_mov_b32_e32 v125, v135
	v_pk_add_f32 v[76:77], v[132:133], v[76:77]
	v_pk_add_f32 v[2:3], v[124:125], v[2:3]
	ds_write2_b64 v14, v[76:77], v[2:3] offset0:8 offset1:9
	v_pk_add_f32 v[2:3], v[0:1], v[244:245]
	v_pk_add_f32 v[4:5], v[0:1], v[210:211]
	;; [unrolled: 1-line block ×16, first 2 shown]
	ds_write2_b64 v14, v[2:3], v[4:5] offset0:10 offset1:11
	v_pk_add_f32 v[2:3], v[0:1], v[168:169]
	v_pk_add_f32 v[4:5], v[0:1], v[136:137]
	v_pk_add_f32 v[2:3], v[172:173], v[2:3]
	v_pk_add_f32 v[4:5], v[140:141], v[4:5]
	v_pk_add_f32 v[2:3], v[178:179], v[2:3]
	v_pk_add_f32 v[4:5], v[146:147], v[4:5]
	v_pk_add_f32 v[2:3], v[182:183], v[2:3]
	v_pk_add_f32 v[4:5], v[150:151], v[4:5]
	v_pk_add_f32 v[2:3], v[186:187], v[2:3]
	v_pk_add_f32 v[4:5], v[154:155], v[4:5]
	v_pk_add_f32 v[2:3], v[190:191], v[2:3]
	v_pk_add_f32 v[4:5], v[158:159], v[4:5]
	v_pk_add_f32 v[2:3], v[194:195], v[2:3]
	v_pk_add_f32 v[4:5], v[162:163], v[4:5]
	v_mov_b32_e32 v167, v165
	v_pk_add_f32 v[2:3], v[198:199], v[2:3]
	v_pk_add_f32 v[4:5], v[166:167], v[4:5]
	v_mov_b32_e32 v79, v85
	v_mov_b32_e32 v41, v27
	v_accvgpr_read_b32 v47, a13
	ds_write2_b64 v14, v[2:3], v[4:5] offset0:12 offset1:13
	v_pk_add_f32 v[2:3], v[0:1], v[78:79]
	v_pk_add_f32 v[4:5], v[0:1], v[40:41]
	;; [unrolled: 1-line block ×3, first 2 shown]
	v_accvgpr_read_b32 v43, a15
	v_mov_b32_e32 v89, v19
	v_mov_b32_e32 v45, v23
	v_pk_add_f32 v[0:1], v[42:43], v[0:1]
	v_accvgpr_read_b32 v13, a17
	v_pk_add_f32 v[2:3], v[88:89], v[2:3]
	v_mov_b32_e32 v97, v95
	v_pk_add_f32 v[4:5], v[44:45], v[4:5]
	v_mov_b32_e32 v51, v49
	;; [unrolled: 2-line block ×5, first 2 shown]
	v_pk_add_f32 v[0:1], v[16:17], v[0:1]
	v_accvgpr_read_b32 v21, a19
	v_pk_add_f32 v[2:3], v[102:103], v[2:3]
	v_mov_b32_e32 v111, v109
	v_pk_add_f32 v[4:5], v[54:55], v[4:5]
	v_mov_b32_e32 v59, v57
	v_pk_add_f32 v[0:1], v[20:21], v[0:1]
	v_accvgpr_read_b32 v25, a21
	v_pk_add_f32 v[2:3], v[110:111], v[2:3]
	v_mov_b32_e32 v117, v115
	v_pk_add_f32 v[4:5], v[58:59], v[4:5]
	v_mov_b32_e32 v63, v61
	;; [unrolled: 2-line block ×6, first 2 shown]
	v_subrev_u32_e32 v84, 17, v222
	v_pk_add_f32 v[2:3], v[122:123], v[2:3]
	v_mov_b32_e32 v129, v127
	v_pk_add_f32 v[4:5], v[66:67], v[4:5]
	v_mov_b32_e32 v71, v69
	v_pk_add_f32 v[0:1], v[38:39], v[0:1]
	v_cndmask_b32_e32 v30, v84, v222, vcc
	v_pk_add_f32 v[2:3], v[128:129], v[2:3]
	v_pk_add_f32 v[4:5], v[70:71], v[4:5]
	ds_write_b64 v14, v[0:1] offset:128
	v_lshlrev_b32_e32 v0, 4, v30
	v_mov_b32_e32 v1, v223
	ds_write2_b64 v14, v[2:3], v[4:5] offset0:14 offset1:15
	v_lshl_add_u64 v[4:5], v[0:1], 3, s[4:5]
	s_waitcnt lgkmcnt(0)
	s_barrier
	global_load_dwordx4 v[0:3], v[4:5], off
	global_load_dwordx4 v[6:9], v[4:5], off offset:32
	global_load_dwordx4 v[16:19], v[4:5], off offset:48
	;; [unrolled: 1-line block ×7, first 2 shown]
	v_accvgpr_read_b32 v5, a10
	ds_read2_b64 v[20:23], v5 offset0:34 offset1:68
	ds_read2_b64 v[24:27], v5 offset0:170 offset1:204
	v_accvgpr_read_b32 v4, a9
	ds_read2_b64 v[44:47], v4 offset0:110 offset1:144
	v_accvgpr_read_b32 v12, a7
	v_accvgpr_read_b32 v31, a10
	v_cmp_lt_u32_e64 s[2:3], 16, v222
	s_mov_b32 s15, s44
	s_mov_b32 s45, s14
	;; [unrolled: 1-line block ×25, first 2 shown]
	s_waitcnt vmcnt(7) lgkmcnt(2)
	v_mul_f32_e32 v10, v1, v21
	v_mul_f32_e32 v1, v1, v20
	v_fmac_f32_e32 v10, v0, v20
	v_fma_f32 v11, v0, v21, -v1
	v_mul_f32_e32 v0, v3, v22
	v_fma_f32 v15, v2, v23, -v0
	s_waitcnt vmcnt(6)
	v_mov_b32_e32 v0, v7
	s_waitcnt lgkmcnt(1)
	v_pk_mul_f32 v[0:1], v[24:25], v[0:1] op_sel:[1,0] op_sel_hi:[0,1]
	v_pk_fma_f32 v[42:43], v[24:25], v[6:7], v[0:1]
	v_pk_mul_f32 v[0:1], v[24:25], v[6:7] op_sel:[1,0] op_sel_hi:[0,1]
	v_mov_b32_e32 v0, v1
	v_pk_fma_f32 v[4:5], v[24:25], v[6:7], v[0:1] op_sel:[1,0,0] op_sel_hi:[0,1,1] neg_lo:[0,0,1] neg_hi:[0,0,1]
	v_mov_b32_e32 v0, v9
	v_pk_mul_f32 v[0:1], v[26:27], v[0:1] op_sel:[1,0] op_sel_hi:[0,1]
	v_pk_fma_f32 v[6:7], v[26:27], v[8:9], v[0:1]
	v_pk_mul_f32 v[0:1], v[26:27], v[8:9] op_sel:[1,0] op_sel_hi:[0,1]
	v_mov_b32_e32 v0, v1
	v_pk_fma_f32 v[24:25], v[26:27], v[8:9], v[0:1] op_sel:[1,0,0] op_sel_hi:[0,1,1] neg_lo:[0,0,1] neg_hi:[0,0,1]
	s_waitcnt vmcnt(5)
	v_mov_b32_e32 v0, v17
	s_waitcnt lgkmcnt(0)
	v_pk_mul_f32 v[0:1], v[44:45], v[0:1] op_sel:[1,0] op_sel_hi:[0,1]
	v_pk_fma_f32 v[8:9], v[44:45], v[16:17], v[0:1]
	v_pk_mul_f32 v[0:1], v[44:45], v[16:17] op_sel:[1,0] op_sel_hi:[0,1]
	v_mul_f32_e32 v14, v3, v23
	v_mov_b32_e32 v0, v1
	v_fmac_f32_e32 v14, v2, v22
	v_pk_fma_f32 v[16:17], v[44:45], v[16:17], v[0:1] op_sel:[1,0,0] op_sel_hi:[0,1,1] neg_lo:[0,0,1] neg_hi:[0,0,1]
	ds_read2_b64 v[0:3], v12 offset0:50 offset1:84
	ds_read2_b64 v[68:71], v12 offset0:118 offset1:152
	v_mov_b32_e32 v12, v19
	v_pk_mul_f32 v[12:13], v[46:47], v[12:13] op_sel_hi:[1,0]
	v_accvgpr_read_b32 v26, a7
	v_pk_fma_f32 v[20:21], v[46:47], v[18:19], v[12:13] op_sel:[0,0,1] op_sel_hi:[1,0,0]
	v_pk_fma_f32 v[12:13], v[46:47], v[18:19], v[12:13] op_sel:[0,0,1] op_sel_hi:[1,0,0] neg_lo:[0,0,1] neg_hi:[0,0,1]
	s_waitcnt vmcnt(4) lgkmcnt(1)
	v_pk_mul_f32 v[18:19], v[0:1], v[36:37] op_sel:[0,1]
	s_nop 0
	v_pk_fma_f32 v[22:23], v[0:1], v[36:37], v[18:19] op_sel:[0,0,1] op_sel_hi:[1,0,0]
	v_pk_fma_f32 v[18:19], v[0:1], v[36:37], v[18:19] op_sel:[0,0,1] op_sel_hi:[1,0,0] neg_lo:[0,0,1] neg_hi:[0,0,1]
	v_mov_b32_e32 v0, v39
	v_pk_mul_f32 v[0:1], v[2:3], v[0:1] op_sel_hi:[1,0]
	v_pk_add_f32 v[76:77], v[12:13], v[18:19]
	v_pk_fma_f32 v[46:47], v[2:3], v[38:39], v[0:1] op_sel:[0,0,1] op_sel_hi:[1,0,0]
	v_pk_fma_f32 v[44:45], v[2:3], v[38:39], v[0:1] op_sel:[0,0,1] op_sel_hi:[1,0,0] neg_lo:[0,0,1] neg_hi:[0,0,1]
	s_waitcnt vmcnt(3) lgkmcnt(0)
	v_pk_mul_f32 v[0:1], v[68:69], v[52:53] op_sel:[0,1]
	v_pk_add_f32 v[74:75], v[16:17], v[44:45] op_sel_hi:[0,1]
	v_pk_fma_f32 v[50:51], v[68:69], v[52:53], v[0:1] op_sel:[0,0,1] op_sel_hi:[1,0,0]
	v_pk_fma_f32 v[48:49], v[68:69], v[52:53], v[0:1] op_sel:[0,0,1] op_sel_hi:[1,0,0] neg_lo:[0,0,1] neg_hi:[0,0,1]
	ds_read2_b64 v[0:3], v26 offset0:186 offset1:220
	v_mov_b32_e32 v26, v55
	v_pk_mul_f32 v[26:27], v[70:71], v[26:27] op_sel_hi:[1,0]
	v_pk_add_f32 v[72:73], v[24:25], v[48:49] op_sel_hi:[0,1]
	v_pk_fma_f32 v[28:29], v[70:71], v[54:55], v[26:27] op_sel:[0,0,1] op_sel_hi:[1,0,0]
	s_waitcnt vmcnt(2) lgkmcnt(0)
	v_pk_mul_f32 v[32:33], v[0:1], v[56:57] op_sel:[0,1]
	v_pk_fma_f32 v[52:53], v[70:71], v[54:55], v[26:27] op_sel:[0,0,1] op_sel_hi:[1,0,0] neg_lo:[0,0,1] neg_hi:[0,0,1]
	v_pk_fma_f32 v[26:27], v[0:1], v[56:57], v[32:33] op_sel:[0,0,1] op_sel_hi:[1,1,0]
	v_pk_fma_f32 v[32:33], v[0:1], v[56:57], v[32:33] op_sel:[0,0,1] op_sel_hi:[1,0,0] neg_lo:[0,0,1] neg_hi:[0,0,1]
	v_accvgpr_read_b32 v0, a11
	ds_read2_b64 v[54:57], v0 offset0:126 offset1:160
	v_mov_b32_e32 v0, v59
	v_pk_mul_f32 v[0:1], v[2:3], v[0:1] op_sel_hi:[1,0]
	s_waitcnt vmcnt(1)
	v_mov_b32_e32 v32, v63
	v_pk_fma_f32 v[36:37], v[2:3], v[58:59], v[0:1] op_sel:[0,0,1] op_sel_hi:[1,1,0]
	v_pk_fma_f32 v[58:59], v[2:3], v[58:59], v[0:1] op_sel:[0,0,1] op_sel_hi:[1,0,0] neg_lo:[0,0,1] neg_hi:[0,0,1]
	s_waitcnt lgkmcnt(0)
	v_pk_mul_f32 v[0:1], v[54:55], v[60:61] op_sel:[0,1]
	v_mov_b32_e32 v27, v33
	v_pk_fma_f32 v[38:39], v[54:55], v[60:61], v[0:1] op_sel:[0,0,1] op_sel_hi:[1,1,0]
	v_pk_fma_f32 v[54:55], v[54:55], v[60:61], v[0:1] op_sel:[0,0,1] op_sel_hi:[1,0,0] neg_lo:[0,0,1] neg_hi:[0,0,1]
	ds_read2_b64 v[0:3], v31 offset0:102 offset1:136
	v_pk_mul_f32 v[60:61], v[56:57], v[32:33] op_sel_hi:[1,0]
	v_pk_add_f32 v[32:33], v[42:43], v[28:29] neg_lo:[0,1] neg_hi:[0,1]
	v_pk_fma_f32 v[40:41], v[56:57], v[62:63], v[60:61] op_sel:[0,0,1] op_sel_hi:[1,1,0]
	v_pk_fma_f32 v[56:57], v[56:57], v[62:63], v[60:61] op_sel:[0,0,1] op_sel_hi:[1,0,0] neg_lo:[0,0,1] neg_hi:[0,0,1]
	s_waitcnt vmcnt(0) lgkmcnt(0)
	v_pk_mul_f32 v[60:61], v[0:1], v[64:65] op_sel:[0,1]
	v_pk_add_f32 v[70:71], v[4:5], v[52:53] op_sel_hi:[0,1]
	v_pk_fma_f32 v[62:63], v[0:1], v[64:65], v[60:61] op_sel:[0,0,1] op_sel_hi:[1,0,0]
	v_pk_fma_f32 v[60:61], v[0:1], v[64:65], v[60:61] op_sel:[0,0,1] op_sel_hi:[1,0,0] neg_lo:[0,0,1] neg_hi:[0,0,1]
	v_mov_b32_e32 v0, v67
	v_pk_mul_f32 v[0:1], v[2:3], v[0:1] op_sel_hi:[1,0]
	v_mov_b32_e32 v39, v55
	v_pk_fma_f32 v[64:65], v[2:3], v[66:67], v[0:1] op_sel:[0,0,1] op_sel_hi:[1,0,0]
	v_pk_fma_f32 v[66:67], v[2:3], v[66:67], v[0:1] op_sel:[0,0,1] op_sel_hi:[1,0,0] neg_lo:[0,0,1] neg_hi:[0,0,1]
	v_mov_b32_e32 v0, 0x908
	v_cndmask_b32_e64 v0, 0, v0, s[2:3]
	v_add_u32_e32 v0, 0, v0
	v_lshlrev_b32_e32 v1, 3, v30
	v_add3_u32 v85, v0, v1, v94
	v_accvgpr_read_b32 v0, a8
	ds_read_b64 v[0:1], v0
	v_pk_add_f32 v[2:3], v[42:43], v[28:29]
	v_pk_add_f32 v[54:55], v[24:25], v[48:49] op_sel:[0,1] neg_lo:[0,1] neg_hi:[0,1]
	v_mov_b32_e32 v3, v32
	v_mov_b32_e32 v48, v8
	s_waitcnt lgkmcnt(0)
	v_add_f32_e32 v29, v10, v0
	v_add_f32_e32 v29, v29, v14
	;; [unrolled: 1-line block ×10, first 2 shown]
	v_mov_b32_e32 v29, v53
	v_pk_add_f32 v[42:43], v[4:5], v[52:53] op_sel:[0,1] neg_lo:[0,1] neg_hi:[0,1]
	v_pk_add_f32 v[4:5], v[6:7], v[50:51]
	v_pk_add_f32 v[52:53], v[6:7], v[50:51] neg_lo:[0,1] neg_hi:[0,1]
	v_mov_b32_e32 v51, v49
	v_mov_b32_e32 v5, v52
	;; [unrolled: 1-line block ×4, first 2 shown]
	v_pk_add_f32 v[6:7], v[8:9], v[46:47]
	v_pk_add_f32 v[24:25], v[8:9], v[46:47] neg_lo:[0,1] neg_hi:[0,1]
	v_mov_b32_e32 v49, v16
	v_pk_add_f32 v[32:33], v[32:33], v[52:53]
	v_mov_b32_e32 v7, v24
	v_mov_b32_e32 v47, v45
	v_pk_add_f32 v[24:25], v[16:17], v[44:45] op_sel:[0,1] neg_lo:[0,1] neg_hi:[0,1]
	v_mov_b32_e32 v44, v20
	v_mov_b32_e32 v45, v13
	v_pk_add_f32 v[32:33], v[32:33], v[48:49]
	v_mov_b32_e32 v41, v57
	v_mov_b32_e32 v56, v22
	;; [unrolled: 1-line block ×3, first 2 shown]
	v_pk_add_f32 v[32:33], v[32:33], v[44:45]
	v_mov_b32_e32 v65, v67
	v_pk_add_f32 v[32:33], v[32:33], v[56:57]
	v_mov_b32_e32 v37, v59
	v_pk_add_f32 v[32:33], v[32:33], v[46:47]
	v_pk_add_f32 v[108:109], v[64:65], v[26:27]
	v_pk_add_f32 v[32:33], v[32:33], v[50:51]
	v_pk_add_f32 v[116:117], v[64:65], v[26:27] neg_lo:[0,1] neg_hi:[0,1]
	v_pk_add_f32 v[28:29], v[32:33], v[28:29]
	v_pk_add_f32 v[94:95], v[10:11], v[40:41] neg_lo:[0,1] neg_hi:[0,1]
	v_pk_add_f32 v[26:27], v[28:29], v[26:27]
	v_mov_b32_e32 v63, v61
	v_pk_add_f32 v[26:27], v[26:27], v[36:37]
	v_pk_add_f32 v[8:9], v[20:21], v[22:23]
	v_pk_add_f32 v[16:17], v[20:21], v[22:23] neg_lo:[0,1] neg_hi:[0,1]
	v_pk_add_f32 v[88:89], v[10:11], v[40:41]
	v_pk_mul_f32 v[10:11], v[94:95], s[22:23] op_sel_hi:[1,0]
	v_pk_add_f32 v[96:97], v[14:15], v[38:39] neg_lo:[0,1] neg_hi:[0,1]
	v_pk_add_f32 v[122:123], v[62:63], v[36:37]
	v_pk_add_f32 v[124:125], v[62:63], v[36:37] neg_lo:[0,1] neg_hi:[0,1]
	v_pk_add_f32 v[26:27], v[26:27], v[38:39]
	v_mov_b32_e32 v9, v16
	v_pk_fma_f32 v[16:17], v[88:89], s[6:7], v[10:11] op_sel:[0,0,1] op_sel_hi:[1,0,0]
	v_pk_fma_f32 v[34:35], v[88:89], s[6:7], v[10:11] op_sel:[0,0,1] op_sel_hi:[1,0,0] neg_lo:[0,0,1] neg_hi:[0,0,1]
	v_pk_add_f32 v[92:93], v[14:15], v[38:39]
	v_pk_mul_f32 v[14:15], v[96:97], s[30:31] op_sel_hi:[1,0]
	v_pk_add_f32 v[28:29], v[26:27], v[40:41]
	v_mov_b32_e32 v26, v122
	v_mov_b32_e32 v27, v124
	v_accvgpr_write_b32 a11, v17
	v_mov_b32_e32 v17, v35
	v_pk_fma_f32 v[20:21], v[92:93], s[8:9], v[14:15] op_sel:[0,0,1] op_sel_hi:[1,0,0]
	v_pk_fma_f32 v[14:15], v[92:93], s[8:9], v[14:15] op_sel:[0,0,1] op_sel_hi:[1,0,0] neg_lo:[0,0,1] neg_hi:[0,0,1]
	v_mov_b32_e32 v32, v125
	v_mov_b32_e32 v33, v123
	v_pk_mul_f32 v[36:37], v[26:27], s[14:15]
	v_pk_add_f32 v[58:59], v[12:13], v[18:19] neg_lo:[0,1] neg_hi:[0,1]
	v_pk_add_f32 v[18:19], v[16:17], v[0:1]
	v_accvgpr_write_b32 a13, v21
	v_mov_b32_e32 v21, v15
	v_pk_fma_f32 v[26:27], v[32:33], s[44:45], v[36:37] neg_lo:[1,0,0] neg_hi:[1,0,0]
	v_pk_fma_f32 v[38:39], v[32:33], s[44:45], v[36:37]
	v_pk_fma_f32 v[32:33], v[32:33], s[44:45], v[36:37] neg_lo:[0,0,1] neg_hi:[0,0,1]
	v_pk_add_f32 v[68:69], v[20:21], v[18:19]
	v_mov_b32_e32 v27, v39
	v_mov_b32_e32 v39, v33
	v_pk_add_f32 v[32:33], v[38:39], v[68:69]
	v_mov_b32_e32 v38, v108
	v_mov_b32_e32 v39, v116
	;; [unrolled: 1-line block ×4, first 2 shown]
	v_pk_mul_f32 v[38:39], v[38:39], s[10:11]
	v_mov_b32_e32 v70, v42
	v_pk_mul_f32 v[20:21], v[2:3], s[20:21]
	v_pk_fma_f32 v[48:49], v[36:37], s[38:39], v[38:39] neg_lo:[1,0,0] neg_hi:[1,0,0]
	v_pk_fma_f32 v[40:41], v[36:37], s[38:39], v[38:39]
	v_pk_fma_f32 v[36:37], v[36:37], s[38:39], v[38:39] neg_lo:[0,0,1] neg_hi:[0,0,1]
	v_pk_fma_f32 v[18:19], v[42:43], s[24:25], v[20:21] neg_lo:[1,0,0] neg_hi:[1,0,0]
	v_pk_fma_f32 v[42:43], v[70:71], s[24:25], v[20:21]
	v_pk_fma_f32 v[20:21], v[70:71], s[24:25], v[20:21] neg_lo:[0,0,1] neg_hi:[0,0,1]
	v_mov_b32_e32 v72, v54
	v_pk_mul_f32 v[22:23], v[4:5], s[16:17]
	v_mov_b32_e32 v49, v41
	v_mov_b32_e32 v41, v37
	;; [unrolled: 1-line block ×4, first 2 shown]
	v_pk_fma_f32 v[20:21], v[54:55], s[26:27], v[22:23] neg_lo:[1,0,0] neg_hi:[1,0,0]
	v_pk_fma_f32 v[54:55], v[72:73], s[26:27], v[22:23]
	v_pk_fma_f32 v[22:23], v[72:73], s[26:27], v[22:23] neg_lo:[0,0,1] neg_hi:[0,0,1]
	v_mov_b32_e32 v74, v24
	v_pk_mul_f32 v[78:79], v[6:7], s[12:13]
	v_pk_add_f32 v[32:33], v[40:41], v[32:33]
	v_mov_b32_e32 v21, v55
	v_mov_b32_e32 v55, v23
	v_pk_fma_f32 v[22:23], v[24:25], s[28:29], v[78:79] neg_lo:[1,0,0] neg_hi:[1,0,0]
	v_pk_fma_f32 v[80:81], v[74:75], s[28:29], v[78:79]
	v_pk_fma_f32 v[24:25], v[74:75], s[28:29], v[78:79] neg_lo:[0,0,1] neg_hi:[0,0,1]
	v_mov_b32_e32 v76, v59
	v_pk_mul_f32 v[78:79], v[8:9], s[18:19]
	v_pk_add_f32 v[32:33], v[42:43], v[32:33]
	v_mov_b32_e32 v23, v81
	v_mov_b32_e32 v81, v25
	v_pk_fma_f32 v[24:25], v[58:59], s[34:35], v[78:79] op_sel:[1,0,0] neg_lo:[1,0,0] neg_hi:[1,0,0]
	v_pk_fma_f32 v[58:59], v[76:77], s[34:35], v[78:79]
	v_pk_fma_f32 v[78:79], v[76:77], s[34:35], v[78:79] neg_lo:[0,0,1] neg_hi:[0,0,1]
	v_pk_add_f32 v[32:33], v[54:55], v[32:33]
	v_mov_b32_e32 v25, v59
	v_mov_b32_e32 v59, v79
	v_pk_add_f32 v[32:33], v[80:81], v[32:33]
	s_nop 0
	v_pk_add_f32 v[32:33], v[58:59], v[32:33]
	s_barrier
	ds_write2_b64 v85, v[28:29], v[32:33] offset1:17
	v_pk_mul_f32 v[28:29], v[94:95], s[30:31] op_sel_hi:[1,0]
	v_pk_mul_f32 v[32:33], v[96:97], s[38:39] op_sel_hi:[1,0]
	v_pk_fma_f32 v[10:11], v[88:89], s[8:9], v[28:29] op_sel:[0,0,1] op_sel_hi:[1,0,0]
	v_pk_fma_f32 v[38:39], v[88:89], s[8:9], v[28:29] op_sel:[0,0,1] op_sel_hi:[1,0,0] neg_lo:[0,0,1] neg_hi:[0,0,1]
	v_mov_b32_e32 v28, v10
	v_mov_b32_e32 v29, v39
	v_pk_fma_f32 v[40:41], v[92:93], s[10:11], v[32:33] op_sel:[0,0,1] op_sel_hi:[1,0,0]
	v_pk_fma_f32 v[42:43], v[92:93], s[10:11], v[32:33] op_sel:[0,0,1] op_sel_hi:[1,0,0] neg_lo:[0,0,1] neg_hi:[0,0,1]
	v_pk_add_f32 v[28:29], v[28:29], v[0:1]
	v_mov_b32_e32 v32, v40
	v_mov_b32_e32 v33, v43
	v_pk_add_f32 v[28:29], v[32:33], v[28:29]
	v_pk_mul_f32 v[32:33], v[124:125], s[26:27] op_sel_hi:[1,0]
	s_mov_b32 s2, s12
	v_pk_fma_f32 v[50:51], v[122:123], s[16:17], v[32:33] op_sel:[0,0,1] op_sel_hi:[1,0,0]
	v_pk_fma_f32 v[44:45], v[122:123], s[16:17], v[32:33] op_sel:[0,0,1] op_sel_hi:[1,0,0] neg_lo:[0,0,1] neg_hi:[0,0,1]
	v_mov_b32_e32 v32, v50
	v_mov_b32_e32 v33, v45
	v_pk_add_f32 v[28:29], v[32:33], v[28:29]
	v_pk_mul_f32 v[32:33], v[116:117], s[34:35] op_sel_hi:[1,0]
	s_mov_b32 s3, s52
	v_pk_fma_f32 v[52:53], v[108:109], s[18:19], v[32:33] op_sel:[0,0,1] op_sel_hi:[1,0,0]
	v_pk_fma_f32 v[46:47], v[108:109], s[18:19], v[32:33] op_sel:[0,0,1] op_sel_hi:[1,0,0] neg_lo:[0,0,1] neg_hi:[0,0,1]
	v_mov_b32_e32 v32, v52
	v_mov_b32_e32 v33, v47
	v_pk_mul_f32 v[56:57], v[70:71], s[52:53]
	v_pk_add_f32 v[28:29], v[32:33], v[28:29]
	v_pk_fma_f32 v[54:55], v[2:3], s[2:3], v[56:57]
	v_pk_fma_f32 v[32:33], v[2:3], s[2:3], v[56:57] neg_lo:[1,0,0] neg_hi:[1,0,0]
	v_pk_mul_f32 v[60:61], v[72:73], s[48:49]
	v_mov_b32_e32 v32, v54
	v_pk_add_f32 v[28:29], v[32:33], v[28:29]
	v_pk_fma_f32 v[58:59], v[4:5], s[56:57], v[60:61]
	v_pk_fma_f32 v[32:33], v[4:5], s[56:57], v[60:61] neg_lo:[1,0,0] neg_hi:[1,0,0]
	v_pk_mul_f32 v[64:65], v[74:75], s[36:37]
	v_mov_b32_e32 v32, v58
	v_pk_add_f32 v[28:29], v[32:33], v[28:29]
	v_pk_fma_f32 v[62:63], v[6:7], s[58:59], v[64:65]
	v_pk_fma_f32 v[32:33], v[6:7], s[58:59], v[64:65] neg_lo:[1,0,0] neg_hi:[1,0,0]
	s_mov_b32 s7, s40
	v_mov_b32_e32 v32, v62
	v_pk_mul_f32 v[68:69], v[76:77], s[40:41]
	v_pk_add_f32 v[28:29], v[32:33], v[28:29]
	v_pk_fma_f32 v[66:67], v[8:9], s[6:7], v[68:69]
	v_pk_fma_f32 v[32:33], v[8:9], s[6:7], v[68:69] neg_lo:[1,0,0] neg_hi:[1,0,0]
	v_pk_mul_f32 v[82:83], v[96:97], s[26:27] op_sel_hi:[1,0]
	v_mov_b32_e32 v32, v66
	v_pk_add_f32 v[28:29], v[32:33], v[28:29]
	v_pk_mul_f32 v[32:33], v[94:95], s[44:45] op_sel_hi:[1,0]
	v_pk_fma_f32 v[36:37], v[92:93], s[16:17], v[82:83] op_sel:[0,0,1] op_sel_hi:[1,0,0]
	v_pk_fma_f32 v[80:81], v[88:89], s[14:15], v[32:33] op_sel:[0,0,1] op_sel_hi:[1,0,0]
	v_pk_fma_f32 v[78:79], v[88:89], s[14:15], v[32:33] op_sel:[0,0,1] op_sel_hi:[1,0,0] neg_lo:[0,0,1] neg_hi:[0,0,1]
	v_mov_b32_e32 v32, v80
	v_mov_b32_e32 v33, v79
	v_pk_fma_f32 v[82:83], v[92:93], s[16:17], v[82:83] op_sel:[0,0,1] op_sel_hi:[1,0,0] neg_lo:[0,0,1] neg_hi:[0,0,1]
	v_pk_add_f32 v[32:33], v[32:33], v[0:1]
	v_mov_b32_e32 v86, v36
	v_mov_b32_e32 v87, v83
	v_pk_add_f32 v[90:91], v[86:87], v[32:33]
	v_pk_mul_f32 v[86:87], v[124:125], s[54:55] op_sel_hi:[1,0]
	s_mov_b32 s9, s42
	v_pk_fma_f32 v[32:33], v[122:123], s[18:19], v[86:87] op_sel:[0,0,1] op_sel_hi:[1,0,0]
	v_pk_fma_f32 v[86:87], v[122:123], s[18:19], v[86:87] op_sel:[0,0,1] op_sel_hi:[1,0,0] neg_lo:[0,0,1] neg_hi:[0,0,1]
	v_mov_b32_e32 v98, v32
	v_mov_b32_e32 v99, v87
	v_pk_add_f32 v[90:91], v[98:99], v[90:91]
	v_pk_mul_f32 v[98:99], v[116:117], s[48:49] op_sel_hi:[1,0]
	v_pk_mul_f32 v[104:105], v[70:71], s[42:43]
	v_pk_fma_f32 v[100:101], v[108:109], s[20:21], v[98:99] op_sel:[0,0,1] op_sel_hi:[1,0,0]
	v_pk_fma_f32 v[98:99], v[108:109], s[20:21], v[98:99] op_sel:[0,0,1] op_sel_hi:[1,0,0] neg_lo:[0,0,1] neg_hi:[0,0,1]
	v_mov_b32_e32 v102, v100
	v_mov_b32_e32 v103, v99
	v_pk_add_f32 v[90:91], v[102:103], v[90:91]
	v_pk_fma_f32 v[102:103], v[2:3], s[8:9], v[104:105]
	v_pk_fma_f32 v[106:107], v[2:3], s[8:9], v[104:105] neg_lo:[1,0,0] neg_hi:[1,0,0]
	s_mov_b32 s23, s6
	v_mov_b32_e32 v106, v102
	s_mov_b32 s54, s6
	s_mov_b32 s55, s22
	v_pk_mul_f32 v[110:111], v[72:73], s[22:23]
	v_pk_add_f32 v[90:91], v[106:107], v[90:91]
	v_pk_fma_f32 v[106:107], v[4:5], s[54:55], v[110:111]
	v_pk_fma_f32 v[112:113], v[4:5], s[54:55], v[110:111] neg_lo:[1,0,0] neg_hi:[1,0,0]
	v_pk_mul_f32 v[114:115], v[74:75], s[38:39]
	v_mov_b32_e32 v112, v106
	v_pk_add_f32 v[90:91], v[112:113], v[90:91]
	v_pk_fma_f32 v[112:113], v[6:7], s[10:11], v[114:115]
	v_pk_fma_f32 v[118:119], v[6:7], s[10:11], v[114:115] neg_lo:[1,0,0] neg_hi:[1,0,0]
	v_pk_mul_f32 v[120:121], v[76:77], s[28:29]
	v_mov_b32_e32 v118, v112
	;; [unrolled: 5-line block ×3, first 2 shown]
	v_pk_add_f32 v[90:91], v[126:127], v[90:91]
	ds_write2_b64 v85, v[28:29], v[90:91] offset0:34 offset1:51
	v_pk_mul_f32 v[28:29], v[94:95], s[38:39] op_sel_hi:[1,0]
	v_pk_mul_f32 v[90:91], v[96:97], s[34:35] op_sel_hi:[1,0]
	v_pk_fma_f32 v[128:129], v[88:89], s[10:11], v[28:29] op_sel:[0,0,1] op_sel_hi:[1,0,0]
	v_pk_fma_f32 v[126:127], v[88:89], s[10:11], v[28:29] op_sel:[0,0,1] op_sel_hi:[1,0,0] neg_lo:[0,0,1] neg_hi:[0,0,1]
	v_mov_b32_e32 v28, v128
	v_mov_b32_e32 v29, v127
	v_pk_fma_f32 v[132:133], v[92:93], s[18:19], v[90:91] op_sel:[0,0,1] op_sel_hi:[1,0,0]
	v_pk_fma_f32 v[130:131], v[92:93], s[18:19], v[90:91] op_sel:[0,0,1] op_sel_hi:[1,0,0] neg_lo:[0,0,1] neg_hi:[0,0,1]
	v_pk_add_f32 v[28:29], v[28:29], v[0:1]
	v_mov_b32_e32 v90, v132
	v_mov_b32_e32 v91, v131
	v_pk_add_f32 v[28:29], v[90:91], v[28:29]
	v_pk_mul_f32 v[90:91], v[124:125], s[48:49] op_sel_hi:[1,0]
	v_pk_fma_f32 v[142:143], v[2:3], s[14:15], v[144:145] neg_lo:[1,0,0] neg_hi:[1,0,0]
	v_pk_fma_f32 v[136:137], v[122:123], s[20:21], v[90:91] op_sel:[0,0,1] op_sel_hi:[1,0,0]
	v_pk_fma_f32 v[134:135], v[122:123], s[20:21], v[90:91] op_sel:[0,0,1] op_sel_hi:[1,0,0] neg_lo:[0,0,1] neg_hi:[0,0,1]
	v_mov_b32_e32 v90, v136
	v_mov_b32_e32 v91, v135
	v_pk_add_f32 v[28:29], v[90:91], v[28:29]
	v_pk_mul_f32 v[90:91], v[116:117], s[40:41] op_sel_hi:[1,0]
	v_pk_mul_f32 v[148:149], v[72:73], s[28:29]
	v_pk_fma_f32 v[140:141], v[108:109], s[6:7], v[90:91] op_sel:[0,0,1] op_sel_hi:[1,0,0]
	v_pk_fma_f32 v[138:139], v[108:109], s[6:7], v[90:91] op_sel:[0,0,1] op_sel_hi:[1,0,0] neg_lo:[0,0,1] neg_hi:[0,0,1]
	v_mov_b32_e32 v90, v140
	v_mov_b32_e32 v91, v139
	v_pk_add_f32 v[90:91], v[90:91], v[28:29]
	v_pk_fma_f32 v[28:29], v[2:3], s[14:15], v[144:145]
	v_pk_fma_f32 v[146:147], v[4:5], s[12:13], v[148:149]
	v_mov_b32_e32 v142, v28
	v_pk_add_f32 v[90:91], v[142:143], v[90:91]
	v_pk_fma_f32 v[142:143], v[4:5], s[12:13], v[148:149] neg_lo:[1,0,0] neg_hi:[1,0,0]
	v_pk_mul_f32 v[152:153], v[74:75], s[50:51]
	v_mov_b32_e32 v142, v146
	v_pk_add_f32 v[90:91], v[142:143], v[90:91]
	v_pk_fma_f32 v[150:151], v[6:7], s[60:61], v[152:153]
	v_pk_fma_f32 v[142:143], v[6:7], s[60:61], v[152:153] neg_lo:[1,0,0] neg_hi:[1,0,0]
	v_pk_mul_f32 v[156:157], v[76:77], s[42:43]
	v_mov_b32_e32 v142, v150
	v_pk_add_f32 v[90:91], v[142:143], v[90:91]
	v_pk_fma_f32 v[154:155], v[8:9], s[8:9], v[156:157]
	v_pk_fma_f32 v[142:143], v[8:9], s[8:9], v[156:157] neg_lo:[1,0,0] neg_hi:[1,0,0]
	v_pk_mul_f32 v[162:163], v[96:97], s[52:53] op_sel_hi:[1,0]
	v_mov_b32_e32 v142, v154
	v_pk_add_f32 v[90:91], v[142:143], v[90:91]
	v_pk_mul_f32 v[142:143], v[94:95], s[24:25] op_sel_hi:[1,0]
	v_pk_fma_f32 v[164:165], v[92:93], s[12:13], v[162:163] op_sel:[0,0,1] op_sel_hi:[1,0,0]
	v_pk_fma_f32 v[160:161], v[88:89], s[20:21], v[142:143] op_sel:[0,0,1] op_sel_hi:[1,0,0]
	v_pk_fma_f32 v[158:159], v[88:89], s[20:21], v[142:143] op_sel:[0,0,1] op_sel_hi:[1,0,0] neg_lo:[0,0,1] neg_hi:[0,0,1]
	v_mov_b32_e32 v142, v160
	v_mov_b32_e32 v143, v159
	v_pk_fma_f32 v[162:163], v[92:93], s[12:13], v[162:163] op_sel:[0,0,1] op_sel_hi:[1,0,0] neg_lo:[0,0,1] neg_hi:[0,0,1]
	v_pk_add_f32 v[142:143], v[142:143], v[0:1]
	v_mov_b32_e32 v166, v164
	v_mov_b32_e32 v167, v163
	v_pk_add_f32 v[142:143], v[166:167], v[142:143]
	v_pk_mul_f32 v[166:167], v[124:125], s[42:43] op_sel_hi:[1,0]
	v_pk_mul_f32 v[176:177], v[70:71], s[34:35]
	v_pk_fma_f32 v[168:169], v[122:123], s[8:9], v[166:167] op_sel:[0,0,1] op_sel_hi:[1,0,0]
	v_pk_fma_f32 v[166:167], v[122:123], s[8:9], v[166:167] op_sel:[0,0,1] op_sel_hi:[1,0,0] neg_lo:[0,0,1] neg_hi:[0,0,1]
	v_mov_b32_e32 v170, v168
	v_mov_b32_e32 v171, v167
	v_pk_add_f32 v[142:143], v[170:171], v[142:143]
	v_pk_mul_f32 v[170:171], v[116:117], s[44:45] op_sel_hi:[1,0]
	v_pk_fma_f32 v[178:179], v[2:3], s[18:19], v[176:177] neg_lo:[1,0,0] neg_hi:[1,0,0]
	v_pk_fma_f32 v[172:173], v[108:109], s[14:15], v[170:171] op_sel:[0,0,1] op_sel_hi:[1,0,0]
	v_pk_fma_f32 v[170:171], v[108:109], s[14:15], v[170:171] op_sel:[0,0,1] op_sel_hi:[1,0,0] neg_lo:[0,0,1] neg_hi:[0,0,1]
	v_mov_b32_e32 v174, v172
	v_mov_b32_e32 v175, v171
	v_pk_add_f32 v[142:143], v[174:175], v[142:143]
	v_pk_fma_f32 v[174:175], v[2:3], s[18:19], v[176:177]
	s_mov_b32 s44, s10
	v_mov_b32_e32 v178, v174
	s_mov_b32 s45, s46
	v_pk_mul_f32 v[180:181], v[72:73], s[46:47]
	v_pk_add_f32 v[142:143], v[178:179], v[142:143]
	v_pk_fma_f32 v[178:179], v[4:5], s[44:45], v[180:181]
	v_pk_fma_f32 v[182:183], v[4:5], s[44:45], v[180:181] neg_lo:[1,0,0] neg_hi:[1,0,0]
	v_pk_mul_f32 v[184:185], v[74:75], s[22:23]
	v_mov_b32_e32 v182, v178
	v_pk_add_f32 v[142:143], v[182:183], v[142:143]
	v_pk_fma_f32 v[182:183], v[6:7], s[54:55], v[184:185]
	v_pk_fma_f32 v[186:187], v[6:7], s[54:55], v[184:185] neg_lo:[1,0,0] neg_hi:[1,0,0]
	v_pk_mul_f32 v[188:189], v[76:77], s[26:27]
	v_mov_b32_e32 v186, v182
	v_pk_add_f32 v[142:143], v[186:187], v[142:143]
	v_pk_fma_f32 v[186:187], v[8:9], s[16:17], v[188:189]
	v_pk_fma_f32 v[190:191], v[8:9], s[16:17], v[188:189] neg_lo:[1,0,0] neg_hi:[1,0,0]
	s_mov_b32 s31, s8
	v_mov_b32_e32 v190, v186
	v_pk_add_f32 v[142:143], v[190:191], v[142:143]
	ds_write2_b64 v85, v[90:91], v[142:143] offset0:68 offset1:85
	v_pk_mul_f32 v[90:91], v[94:95], s[26:27] op_sel_hi:[1,0]
	v_pk_mul_f32 v[142:143], v[96:97], s[48:49] op_sel_hi:[1,0]
	v_pk_fma_f32 v[192:193], v[88:89], s[16:17], v[90:91] op_sel:[0,0,1] op_sel_hi:[1,0,0]
	v_pk_fma_f32 v[190:191], v[88:89], s[16:17], v[90:91] op_sel:[0,0,1] op_sel_hi:[1,0,0] neg_lo:[0,0,1] neg_hi:[0,0,1]
	v_mov_b32_e32 v90, v192
	v_mov_b32_e32 v91, v191
	v_pk_fma_f32 v[196:197], v[92:93], s[20:21], v[142:143] op_sel:[0,0,1] op_sel_hi:[1,0,0]
	v_pk_fma_f32 v[194:195], v[92:93], s[20:21], v[142:143] op_sel:[0,0,1] op_sel_hi:[1,0,0] neg_lo:[0,0,1] neg_hi:[0,0,1]
	v_pk_add_f32 v[90:91], v[90:91], v[0:1]
	v_mov_b32_e32 v142, v196
	v_mov_b32_e32 v143, v195
	v_pk_add_f32 v[90:91], v[142:143], v[90:91]
	v_pk_mul_f32 v[142:143], v[124:125], s[22:23] op_sel_hi:[1,0]
	s_mov_b32 s48, s8
	v_pk_fma_f32 v[16:17], v[122:123], s[6:7], v[142:143] op_sel:[0,0,1] op_sel_hi:[1,0,0]
	v_pk_fma_f32 v[198:199], v[122:123], s[6:7], v[142:143] op_sel:[0,0,1] op_sel_hi:[1,0,0] neg_lo:[0,0,1] neg_hi:[0,0,1]
	v_mov_b32_e32 v142, v16
	v_mov_b32_e32 v143, v199
	v_pk_add_f32 v[90:91], v[142:143], v[90:91]
	v_pk_mul_f32 v[142:143], v[116:117], s[28:29] op_sel_hi:[1,0]
	s_mov_b32 s49, s30
	v_pk_fma_f32 v[202:203], v[108:109], s[12:13], v[142:143] op_sel:[0,0,1] op_sel_hi:[1,0,0]
	v_pk_fma_f32 v[142:143], v[108:109], s[12:13], v[142:143] op_sel:[0,0,1] op_sel_hi:[1,0,0] neg_lo:[0,0,1] neg_hi:[0,0,1]
	v_mov_b32_e32 v204, v202
	v_mov_b32_e32 v205, v143
	v_pk_add_f32 v[90:91], v[204:205], v[90:91]
	v_pk_mul_f32 v[204:205], v[70:71], s[46:47]
	v_accvgpr_write_b32 a15, v11
	v_pk_fma_f32 v[206:207], v[2:3], s[44:45], v[204:205]
	v_pk_fma_f32 v[208:209], v[2:3], s[44:45], v[204:205] neg_lo:[1,0,0] neg_hi:[1,0,0]
	v_pk_mul_f32 v[226:227], v[96:97], s[36:37] op_sel_hi:[1,0]
	v_mov_b32_e32 v208, v206
	v_pk_add_f32 v[90:91], v[208:209], v[90:91]
	v_pk_mul_f32 v[208:209], v[72:73], s[30:31]
	v_pk_fma_f32 v[228:229], v[92:93], s[14:15], v[226:227] op_sel:[0,0,1] op_sel_hi:[1,0,0]
	v_pk_fma_f32 v[210:211], v[4:5], s[48:49], v[208:209]
	v_pk_fma_f32 v[212:213], v[4:5], s[48:49], v[208:209] neg_lo:[1,0,0] neg_hi:[1,0,0]
	v_pk_fma_f32 v[226:227], v[92:93], s[14:15], v[226:227] op_sel:[0,0,1] op_sel_hi:[1,0,0] neg_lo:[0,0,1] neg_hi:[0,0,1]
	v_mov_b32_e32 v212, v210
	v_pk_add_f32 v[90:91], v[212:213], v[90:91]
	v_pk_mul_f32 v[212:213], v[74:75], s[34:35]
	v_mov_b32_e32 v230, v228
	v_pk_fma_f32 v[214:215], v[6:7], s[18:19], v[212:213]
	v_pk_fma_f32 v[216:217], v[6:7], s[18:19], v[212:213] neg_lo:[1,0,0] neg_hi:[1,0,0]
	v_mov_b32_e32 v231, v227
	v_mov_b32_e32 v216, v214
	v_pk_add_f32 v[90:91], v[216:217], v[90:91]
	v_pk_mul_f32 v[216:217], v[76:77], s[36:37]
	v_mov_b32_e32 v227, v229
	v_pk_fma_f32 v[12:13], v[8:9], s[58:59], v[216:217]
	v_pk_fma_f32 v[220:221], v[8:9], s[58:59], v[216:217] neg_lo:[1,0,0] neg_hi:[1,0,0]
	v_mov_b32_e32 v191, v193
	v_mov_b32_e32 v220, v12
	v_pk_add_f32 v[90:91], v[220:221], v[90:91]
	v_pk_mul_f32 v[220:221], v[94:95], s[28:29] op_sel_hi:[1,0]
	v_mov_b32_e32 v195, v197
	v_pk_fma_f32 v[10:11], v[88:89], s[12:13], v[220:221] op_sel:[0,0,1] op_sel_hi:[1,0,0]
	v_pk_fma_f32 v[220:221], v[88:89], s[12:13], v[220:221] op_sel:[0,0,1] op_sel_hi:[1,0,0] neg_lo:[0,0,1] neg_hi:[0,0,1]
	v_mov_b32_e32 v224, v10
	v_mov_b32_e32 v225, v221
	v_pk_add_f32 v[224:225], v[224:225], v[0:1]
	v_mov_b32_e32 v221, v11
	v_pk_add_f32 v[224:225], v[230:231], v[224:225]
	v_pk_mul_f32 v[230:231], v[124:125], s[38:39] op_sel_hi:[1,0]
	v_pk_mul_f32 v[124:125], v[124:125], s[28:29] op_sel_hi:[1,0]
	v_pk_fma_f32 v[232:233], v[122:123], s[10:11], v[230:231] op_sel:[0,0,1] op_sel_hi:[1,0,0]
	v_pk_fma_f32 v[230:231], v[122:123], s[10:11], v[230:231] op_sel:[0,0,1] op_sel_hi:[1,0,0] neg_lo:[0,0,1] neg_hi:[0,0,1]
	v_mov_b32_e32 v234, v232
	v_mov_b32_e32 v235, v231
	v_pk_add_f32 v[224:225], v[234:235], v[224:225]
	v_pk_mul_f32 v[234:235], v[116:117], s[50:51] op_sel_hi:[1,0]
	v_pk_mul_f32 v[116:117], v[116:117], s[42:43] op_sel_hi:[1,0]
	v_pk_fma_f32 v[236:237], v[108:109], s[16:17], v[234:235] op_sel:[0,0,1] op_sel_hi:[1,0,0]
	v_pk_fma_f32 v[234:235], v[108:109], s[16:17], v[234:235] op_sel:[0,0,1] op_sel_hi:[1,0,0] neg_lo:[0,0,1] neg_hi:[0,0,1]
	v_mov_b32_e32 v238, v236
	v_mov_b32_e32 v239, v235
	v_pk_add_f32 v[224:225], v[238:239], v[224:225]
	v_pk_mul_f32 v[238:239], v[70:71], s[22:23]
	v_pk_mul_f32 v[70:71], v[70:71], s[26:27]
	v_pk_fma_f32 v[240:241], v[2:3], s[54:55], v[238:239]
	v_pk_fma_f32 v[242:243], v[2:3], s[54:55], v[238:239] neg_lo:[1,0,0] neg_hi:[1,0,0]
	v_pk_add_f32 v[10:11], v[220:221], v[0:1]
	v_mov_b32_e32 v242, v240
	v_pk_add_f32 v[224:225], v[242:243], v[224:225]
	v_pk_mul_f32 v[242:243], v[72:73], s[34:35]
	v_pk_mul_f32 v[72:73], v[72:73], s[36:37]
	v_pk_fma_f32 v[244:245], v[4:5], s[18:19], v[242:243]
	v_pk_fma_f32 v[246:247], v[4:5], s[18:19], v[242:243] neg_lo:[1,0,0] neg_hi:[1,0,0]
	v_pk_fma_f32 v[30:31], v[4:5], s[58:59], v[72:73]
	v_mov_b32_e32 v246, v244
	v_pk_add_f32 v[224:225], v[246:247], v[224:225]
	v_pk_mul_f32 v[246:247], v[74:75], s[42:43]
	v_pk_mul_f32 v[74:75], v[74:75], s[24:25]
	v_pk_fma_f32 v[248:249], v[6:7], s[8:9], v[246:247]
	v_pk_fma_f32 v[250:251], v[6:7], s[8:9], v[246:247] neg_lo:[1,0,0] neg_hi:[1,0,0]
	v_pk_fma_f32 v[200:201], v[6:7], s[20:21], v[74:75]
	;; [unrolled: 7-line block ×3, first 2 shown]
	v_mov_b32_e32 v254, v252
	v_pk_add_f32 v[224:225], v[254:255], v[224:225]
	ds_write2_b64 v85, v[90:91], v[224:225] offset0:102 offset1:119
	v_pk_mul_f32 v[90:91], v[94:95], s[34:35] op_sel_hi:[1,0]
	v_pk_fma_f32 v[254:255], v[2:3], s[16:17], v[70:71] neg_lo:[1,0,0] neg_hi:[1,0,0]
	v_pk_fma_f32 v[94:95], v[88:89], s[18:19], v[90:91] op_sel:[0,0,1] op_sel_hi:[1,0,0]
	v_pk_fma_f32 v[88:89], v[88:89], s[18:19], v[90:91] op_sel:[0,0,1] op_sel_hi:[1,0,0] neg_lo:[0,0,1] neg_hi:[0,0,1]
	v_pk_mul_f32 v[90:91], v[96:97], s[40:41] op_sel_hi:[1,0]
	v_pk_add_f32 v[10:11], v[226:227], v[10:11]
	v_pk_fma_f32 v[96:97], v[92:93], s[6:7], v[90:91] op_sel:[0,0,1] op_sel_hi:[1,0,0]
	v_pk_fma_f32 v[90:91], v[92:93], s[6:7], v[90:91] op_sel:[0,0,1] op_sel_hi:[1,0,0] neg_lo:[0,0,1] neg_hi:[0,0,1]
	v_mov_b32_e32 v92, v94
	v_mov_b32_e32 v93, v89
	v_pk_add_f32 v[92:93], v[92:93], v[0:1]
	v_mov_b32_e32 v224, v96
	v_mov_b32_e32 v225, v91
	v_pk_add_f32 v[92:93], v[224:225], v[92:93]
	v_pk_fma_f32 v[224:225], v[122:123], s[12:13], v[124:125] op_sel:[0,0,1] op_sel_hi:[1,0,0]
	v_pk_fma_f32 v[122:123], v[122:123], s[12:13], v[124:125] op_sel:[0,0,1] op_sel_hi:[1,0,0] neg_lo:[0,0,1] neg_hi:[0,0,1]
	v_pk_fma_f32 v[124:125], v[108:109], s[8:9], v[116:117] op_sel:[0,0,1] op_sel_hi:[1,0,0]
	v_pk_fma_f32 v[108:109], v[108:109], s[8:9], v[116:117] op_sel:[0,0,1] op_sel_hi:[1,0,0] neg_lo:[0,0,1] neg_hi:[0,0,1]
	v_mov_b32_e32 v116, v224
	v_mov_b32_e32 v117, v123
	v_pk_add_f32 v[92:93], v[116:117], v[92:93]
	v_mov_b32_e32 v116, v124
	v_mov_b32_e32 v117, v109
	v_pk_add_f32 v[92:93], v[116:117], v[92:93]
	v_pk_fma_f32 v[116:117], v[2:3], s[16:17], v[70:71]
	v_mov_b32_e32 v89, v95
	v_mov_b32_e32 v254, v116
	v_pk_add_f32 v[92:93], v[254:255], v[92:93]
	v_pk_fma_f32 v[254:255], v[4:5], s[58:59], v[72:73] neg_lo:[1,0,0] neg_hi:[1,0,0]
	v_pk_fma_f32 v[72:73], v[4:5], s[58:59], v[72:73] neg_lo:[0,0,1] neg_hi:[0,0,1]
	v_mov_b32_e32 v254, v30
	v_pk_add_f32 v[92:93], v[254:255], v[92:93]
	v_pk_fma_f32 v[254:255], v[6:7], s[20:21], v[74:75] neg_lo:[1,0,0] neg_hi:[1,0,0]
	v_mov_b32_e32 v73, v31
	v_mov_b32_e32 v254, v200
	v_pk_add_f32 v[92:93], v[254:255], v[92:93]
	v_pk_fma_f32 v[254:255], v[8:9], s[44:45], v[76:77] neg_lo:[1,0,0] neg_hi:[1,0,0]
	v_pk_fma_f32 v[30:31], v[6:7], s[20:21], v[74:75] neg_lo:[0,0,1] neg_hi:[0,0,1]
	;; [unrolled: 1-line block ×3, first 2 shown]
	v_mov_b32_e32 v91, v97
	v_pk_add_f32 v[76:77], v[88:89], v[0:1]
	v_mov_b32_e32 v123, v225
	v_pk_add_f32 v[76:77], v[90:91], v[76:77]
	v_pk_fma_f32 v[70:71], v[2:3], s[16:17], v[70:71] neg_lo:[0,0,1] neg_hi:[0,0,1]
	v_mov_b32_e32 v109, v125
	v_pk_add_f32 v[76:77], v[122:123], v[76:77]
	v_mov_b32_e32 v71, v117
	v_pk_add_f32 v[76:77], v[108:109], v[76:77]
	;; [unrolled: 2-line block ×5, first 2 shown]
	v_pk_add_f32 v[92:93], v[254:255], v[92:93]
	v_pk_add_f32 v[30:31], v[74:75], v[30:31]
	v_mov_b32_e32 v231, v233
	ds_write2_b64 v85, v[92:93], v[30:31] offset0:136 offset1:153
	v_pk_fma_f32 v[30:31], v[2:3], s[54:55], v[238:239] neg_lo:[0,0,1] neg_hi:[0,0,1]
	v_mov_b32_e32 v235, v237
	v_pk_add_f32 v[10:11], v[230:231], v[10:11]
	v_mov_b32_e32 v31, v241
	v_pk_fma_f32 v[70:71], v[4:5], s[18:19], v[242:243] neg_lo:[0,0,1] neg_hi:[0,0,1]
	v_pk_add_f32 v[10:11], v[234:235], v[10:11]
	v_mov_b32_e32 v71, v245
	v_pk_fma_f32 v[72:73], v[6:7], s[8:9], v[246:247] neg_lo:[0,0,1] neg_hi:[0,0,1]
	;; [unrolled: 3-line block ×3, first 2 shown]
	v_pk_add_f32 v[10:11], v[70:71], v[10:11]
	v_mov_b32_e32 v75, v253
	v_pk_add_f32 v[10:11], v[72:73], v[10:11]
	v_mov_b32_e32 v199, v17
	v_pk_add_f32 v[10:11], v[74:75], v[10:11]
	v_pk_fma_f32 v[74:75], v[8:9], s[58:59], v[216:217] neg_lo:[0,0,1] neg_hi:[0,0,1]
	v_pk_fma_f32 v[30:31], v[2:3], s[44:45], v[204:205] neg_lo:[0,0,1] neg_hi:[0,0,1]
	v_mov_b32_e32 v75, v13
	v_pk_add_f32 v[12:13], v[190:191], v[0:1]
	v_mov_b32_e32 v143, v203
	v_pk_add_f32 v[12:13], v[194:195], v[12:13]
	;; [unrolled: 2-line block ×3, first 2 shown]
	v_pk_fma_f32 v[70:71], v[4:5], s[48:49], v[208:209] neg_lo:[0,0,1] neg_hi:[0,0,1]
	v_pk_add_f32 v[12:13], v[142:143], v[12:13]
	v_mov_b32_e32 v71, v211
	v_pk_fma_f32 v[72:73], v[6:7], s[18:19], v[212:213] neg_lo:[0,0,1] neg_hi:[0,0,1]
	v_pk_add_f32 v[12:13], v[30:31], v[12:13]
	v_mov_b32_e32 v73, v215
	v_pk_add_f32 v[12:13], v[70:71], v[12:13]
	v_mov_b32_e32 v159, v161
	v_pk_add_f32 v[12:13], v[72:73], v[12:13]
	v_mov_b32_e32 v163, v165
	v_pk_add_f32 v[70:71], v[158:159], v[0:1]
	v_pk_add_f32 v[12:13], v[74:75], v[12:13]
	v_pk_add_f32 v[70:71], v[162:163], v[70:71]
	v_mov_b32_e32 v167, v169
	ds_write2_b64 v85, v[10:11], v[12:13] offset0:170 offset1:187
	v_pk_fma_f32 v[10:11], v[2:3], s[18:19], v[176:177] neg_lo:[0,0,1] neg_hi:[0,0,1]
	v_mov_b32_e32 v171, v173
	v_pk_add_f32 v[70:71], v[166:167], v[70:71]
	v_mov_b32_e32 v11, v175
	v_pk_add_f32 v[70:71], v[170:171], v[70:71]
	v_mov_b32_e32 v127, v129
	v_pk_fma_f32 v[12:13], v[4:5], s[44:45], v[180:181] neg_lo:[0,0,1] neg_hi:[0,0,1]
	v_pk_add_f32 v[10:11], v[10:11], v[70:71]
	v_mov_b32_e32 v131, v133
	v_pk_add_f32 v[70:71], v[126:127], v[0:1]
	v_mov_b32_e32 v13, v179
	v_pk_fma_f32 v[16:17], v[6:7], s[54:55], v[184:185] neg_lo:[0,0,1] neg_hi:[0,0,1]
	v_pk_add_f32 v[70:71], v[130:131], v[70:71]
	v_mov_b32_e32 v135, v137
	v_mov_b32_e32 v17, v183
	v_pk_add_f32 v[10:11], v[12:13], v[10:11]
	v_pk_fma_f32 v[12:13], v[2:3], s[14:15], v[144:145] neg_lo:[0,0,1] neg_hi:[0,0,1]
	v_mov_b32_e32 v139, v141
	v_pk_add_f32 v[70:71], v[134:135], v[70:71]
	v_pk_fma_f32 v[30:31], v[8:9], s[16:17], v[188:189] neg_lo:[0,0,1] neg_hi:[0,0,1]
	v_pk_add_f32 v[10:11], v[16:17], v[10:11]
	v_mov_b32_e32 v13, v29
	v_pk_fma_f32 v[16:17], v[4:5], s[12:13], v[148:149] neg_lo:[0,0,1] neg_hi:[0,0,1]
	v_pk_add_f32 v[70:71], v[138:139], v[70:71]
	v_mov_b32_e32 v31, v187
	v_mov_b32_e32 v17, v147
	v_pk_fma_f32 v[28:29], v[6:7], s[60:61], v[152:153] neg_lo:[0,0,1] neg_hi:[0,0,1]
	v_pk_add_f32 v[12:13], v[12:13], v[70:71]
	v_pk_add_f32 v[10:11], v[30:31], v[10:11]
	v_mov_b32_e32 v29, v151
	v_pk_fma_f32 v[30:31], v[8:9], s[8:9], v[156:157] neg_lo:[0,0,1] neg_hi:[0,0,1]
	v_pk_add_f32 v[12:13], v[16:17], v[12:13]
	v_mov_b32_e32 v31, v155
	v_pk_add_f32 v[12:13], v[28:29], v[12:13]
	v_accvgpr_read_b32 v35, a11
	v_pk_add_f32 v[12:13], v[30:31], v[12:13]
	ds_write2_b64 v85, v[10:11], v[12:13] offset0:204 offset1:221
	v_accvgpr_read_b32 v15, a13
	v_pk_add_f32 v[10:11], v[34:35], v[0:1]
	v_mov_b32_e32 v79, v81
	v_pk_add_f32 v[10:11], v[14:15], v[10:11]
	v_accvgpr_read_b32 v39, a15
	v_pk_add_f32 v[10:11], v[26:27], v[10:11]
	v_mov_b32_e32 v83, v37
	v_pk_add_f32 v[10:11], v[48:49], v[10:11]
	v_mov_b32_e32 v43, v41
	v_pk_add_f32 v[10:11], v[18:19], v[10:11]
	v_pk_add_f32 v[18:19], v[78:79], v[0:1]
	;; [unrolled: 1-line block ×6, first 2 shown]
	v_mov_b32_e32 v87, v33
	v_mov_b32_e32 v45, v51
	v_pk_add_f32 v[0:1], v[42:43], v[0:1]
	v_pk_add_f32 v[48:49], v[24:25], v[10:11]
	v_pk_fma_f32 v[10:11], v[2:3], s[8:9], v[104:105] neg_lo:[0,0,1] neg_hi:[0,0,1]
	v_mov_b32_e32 v99, v101
	v_pk_add_f32 v[18:19], v[86:87], v[18:19]
	v_mov_b32_e32 v47, v53
	v_pk_fma_f32 v[2:3], v[2:3], s[2:3], v[56:57] neg_lo:[0,0,1] neg_hi:[0,0,1]
	v_pk_add_f32 v[0:1], v[44:45], v[0:1]
	v_mov_b32_e32 v11, v103
	v_pk_fma_f32 v[12:13], v[4:5], s[54:55], v[110:111] neg_lo:[0,0,1] neg_hi:[0,0,1]
	;; [unrolled: 3-line block ×7, first 2 shown]
	v_pk_add_f32 v[0:1], v[4:5], v[0:1]
	v_mov_b32_e32 v17, v119
	v_pk_add_f32 v[10:11], v[14:15], v[10:11]
	v_mov_b32_e32 v9, v67
	v_pk_add_f32 v[0:1], v[6:7], v[0:1]
	v_pk_add_f32 v[10:11], v[16:17], v[10:11]
	;; [unrolled: 1-line block ×3, first 2 shown]
	ds_write2_b64 v85, v[10:11], v[0:1] offset0:238 offset1:255
	ds_write_b64 v85, v[48:49] offset:2176
	v_accvgpr_read_b32 v0, a9
	v_accvgpr_read_b32 v12, a7
	;; [unrolled: 1-line block ×3, first 2 shown]
	s_waitcnt lgkmcnt(0)
	s_barrier
	ds_read2_b64 v[0:3], v0 offset0:110 offset1:161
	ds_read2_b64 v[4:7], v72 offset0:34 offset1:68
	;; [unrolled: 1-line block ×5, first 2 shown]
	v_accvgpr_read_b32 v24, a7
	v_accvgpr_read_b32 v28, a8
	ds_read2_b64 v[12:15], v72 offset0:170 offset1:204
	ds_read2_b64 v[24:27], v24 offset0:203 offset1:237
	ds_read_b64 v[38:39], v28
	ds_read_b64 v[40:41], v72 offset:4216
                                        ; implicit-def: $vgpr36
	s_and_saveexec_b64 s[2:3], vcc
	s_cbranch_execz .LBB0_20
; %bb.19:
	ds_read_b64 v[48:49], v72 offset:2176
	ds_read_b64 v[36:37], v72 offset:4488
	v_add_u32_e32 v84, 0x110, v222
.LBB0_20:
	s_or_b64 exec, exec, s[2:3]
	v_accvgpr_read_b32 v29, a5
	v_accvgpr_read_b32 v28, a4
	v_lshl_add_u64 v[28:29], v[28:29], 3, s[4:5]
	v_lshl_add_u64 v[30:31], v[222:223], 3, s[4:5]
	global_load_dwordx2 v[32:33], v[28:29], off offset:2176
	global_load_dwordx2 v[34:35], v[30:31], off offset:2448
	;; [unrolled: 1-line block ×8, first 2 shown]
	v_accvgpr_read_b32 v28, a3
	v_accvgpr_read_b32 v29, a6
	v_lshl_add_u32 v70, v28, 3, v29
	s_waitcnt lgkmcnt(0)
	s_barrier
	v_add_u32_e32 v71, 0x800, v70
	s_waitcnt vmcnt(7)
	v_pk_mul_f32 v[28:29], v[32:33], v[2:3] op_sel:[0,1]
	s_waitcnt vmcnt(6)
	v_pk_mul_f32 v[30:31], v[34:35], v[16:17] op_sel:[0,1]
	;; [unrolled: 2-line block ×8, first 2 shown]
	v_pk_fma_f32 v[68:69], v[32:33], v[2:3], v[28:29] op_sel:[0,0,1] op_sel_hi:[1,1,0]
	v_pk_fma_f32 v[2:3], v[32:33], v[2:3], v[28:29] op_sel:[0,0,1] op_sel_hi:[1,0,0] neg_lo:[1,0,0] neg_hi:[1,0,0]
	v_pk_fma_f32 v[28:29], v[34:35], v[16:17], v[30:31] op_sel:[0,0,1] op_sel_hi:[1,1,0]
	v_pk_fma_f32 v[16:17], v[34:35], v[16:17], v[30:31] op_sel:[0,0,1] op_sel_hi:[1,0,0] neg_lo:[1,0,0] neg_hi:[1,0,0]
	;; [unrolled: 2-line block ×8, first 2 shown]
	v_mov_b32_e32 v69, v3
	v_mov_b32_e32 v29, v17
	;; [unrolled: 1-line block ×8, first 2 shown]
	v_pk_add_f32 v[2:3], v[38:39], v[68:69] neg_lo:[0,1] neg_hi:[0,1]
	v_pk_add_f32 v[16:17], v[4:5], v[28:29] neg_lo:[0,1] neg_hi:[0,1]
	;; [unrolled: 1-line block ×8, first 2 shown]
	v_pk_fma_f32 v[30:31], v[38:39], 2.0, v[2:3] op_sel_hi:[1,0,1] neg_lo:[0,0,1] neg_hi:[0,0,1]
	v_pk_fma_f32 v[4:5], v[4:5], 2.0, v[16:17] op_sel_hi:[1,0,1] neg_lo:[0,0,1] neg_hi:[0,0,1]
	;; [unrolled: 1-line block ×7, first 2 shown]
	ds_write_b64 v72, v[2:3] offset:2312
	ds_write2_b64 v71, v[16:17], v[18:19] offset0:67 offset1:101
	ds_write2_b64 v71, v[20:21], v[22:23] offset0:135 offset1:169
	;; [unrolled: 1-line block ×3, first 2 shown]
	v_pk_fma_f32 v[0:1], v[0:1], 2.0, v[28:29] op_sel_hi:[1,0,1] neg_lo:[0,0,1] neg_hi:[0,0,1]
	ds_write2_b64 v72, v[30:31], v[4:5] offset1:34
	ds_write2_b64 v72, v[6:7], v[8:9] offset0:68 offset1:102
	ds_write2_b64 v72, v[10:11], v[12:13] offset0:136 offset1:170
	;; [unrolled: 1-line block ×3, first 2 shown]
	ds_write_b64 v70, v[28:29] offset:4216
	s_and_saveexec_b64 s[2:3], vcc
	s_cbranch_execz .LBB0_22
; %bb.21:
	v_mov_b32_e32 v85, 0
	v_lshl_add_u64 v[0:1], v[84:85], 3, s[4:5]
	global_load_dwordx2 v[0:1], v[0:1], off offset:2176
	v_mov_b32_e32 v2, v37
	s_waitcnt vmcnt(0)
	v_pk_mul_f32 v[2:3], v[2:3], v[0:1] op_sel_hi:[0,1]
	v_pk_fma_f32 v[4:5], v[36:37], v[0:1], v[2:3] op_sel:[0,0,1] op_sel_hi:[1,1,0]
	v_pk_fma_f32 v[0:1], v[36:37], v[0:1], v[2:3] op_sel:[0,0,1] op_sel_hi:[0,1,0] neg_lo:[1,0,0] neg_hi:[1,0,0]
	v_mov_b32_e32 v5, v1
	v_pk_add_f32 v[0:1], v[48:49], v[4:5] neg_lo:[0,1] neg_hi:[0,1]
	s_nop 0
	v_pk_fma_f32 v[2:3], v[48:49], 2.0, v[0:1] op_sel_hi:[1,0,1] neg_lo:[0,0,1] neg_hi:[0,0,1]
	ds_write_b64 v72, v[2:3] offset:2176
	ds_write_b64 v72, v[0:1] offset:4488
.LBB0_22:
	s_or_b64 exec, exec, s[2:3]
	s_waitcnt lgkmcnt(0)
	s_barrier
	s_and_saveexec_b64 s[2:3], s[0:1]
	s_cbranch_execz .LBB0_24
; %bb.23:
	v_accvgpr_read_b32 v0, a2
	v_lshl_add_u32 v8, v222, 3, v0
	ds_read2_b64 v[0:3], v8 offset1:34
	v_accvgpr_read_b32 v11, a1
	v_mov_b32_e32 v223, 0
	v_accvgpr_read_b32 v10, a0
	v_add_u32_e32 v4, 34, v222
	v_lshl_add_u64 v[6:7], v[222:223], 3, v[10:11]
	v_mov_b32_e32 v5, v223
	s_waitcnt lgkmcnt(0)
	global_store_dwordx2 v[6:7], v[0:1], off
	v_lshl_add_u64 v[0:1], v[4:5], 3, v[10:11]
	ds_read2_b64 v[4:7], v8 offset0:68 offset1:102
	global_store_dwordx2 v[0:1], v[2:3], off
	v_add_u32_e32 v0, 0x44, v222
	v_mov_b32_e32 v1, v223
	v_lshl_add_u64 v[0:1], v[0:1], 3, v[10:11]
	s_waitcnt lgkmcnt(0)
	global_store_dwordx2 v[0:1], v[4:5], off
	v_add_u32_e32 v0, 0x66, v222
	v_mov_b32_e32 v1, v223
	v_lshl_add_u64 v[4:5], v[0:1], 3, v[10:11]
	ds_read2_b64 v[0:3], v8 offset0:136 offset1:170
	global_store_dwordx2 v[4:5], v[6:7], off
	v_add_u32_e32 v4, 0x88, v222
	v_mov_b32_e32 v5, v223
	v_lshl_add_u64 v[4:5], v[4:5], 3, v[10:11]
	s_waitcnt lgkmcnt(0)
	global_store_dwordx2 v[4:5], v[0:1], off
	ds_read2_b64 v[4:7], v8 offset0:204 offset1:238
	v_add_u32_e32 v0, 0xaa, v222
	v_mov_b32_e32 v1, v223
	v_lshl_add_u64 v[0:1], v[0:1], 3, v[10:11]
	global_store_dwordx2 v[0:1], v[2:3], off
	v_add_u32_e32 v0, 0xcc, v222
	v_mov_b32_e32 v1, v223
	v_lshl_add_u64 v[0:1], v[0:1], 3, v[10:11]
	s_waitcnt lgkmcnt(0)
	global_store_dwordx2 v[0:1], v[4:5], off
	v_add_u32_e32 v0, 0xee, v222
	v_mov_b32_e32 v1, v223
	v_add_u32_e32 v9, 0x800, v8
	v_lshl_add_u64 v[4:5], v[0:1], 3, v[10:11]
	ds_read2_b64 v[0:3], v9 offset0:16 offset1:50
	global_store_dwordx2 v[4:5], v[6:7], off
	v_add_u32_e32 v4, 0x110, v222
	v_mov_b32_e32 v5, v223
	v_lshl_add_u64 v[4:5], v[4:5], 3, v[10:11]
	s_waitcnt lgkmcnt(0)
	global_store_dwordx2 v[4:5], v[0:1], off
	ds_read2_b64 v[4:7], v9 offset0:84 offset1:118
	v_add_u32_e32 v0, 0x132, v222
	v_mov_b32_e32 v1, v223
	v_lshl_add_u64 v[0:1], v[0:1], 3, v[10:11]
	global_store_dwordx2 v[0:1], v[2:3], off
	v_add_u32_e32 v0, 0x154, v222
	v_mov_b32_e32 v1, v223
	v_lshl_add_u64 v[0:1], v[0:1], 3, v[10:11]
	s_waitcnt lgkmcnt(0)
	global_store_dwordx2 v[0:1], v[4:5], off
	v_add_u32_e32 v0, 0x176, v222
	v_mov_b32_e32 v1, v223
	v_lshl_add_u64 v[4:5], v[0:1], 3, v[10:11]
	ds_read2_b64 v[0:3], v9 offset0:152 offset1:186
	global_store_dwordx2 v[4:5], v[6:7], off
	v_add_u32_e32 v4, 0x198, v222
	v_mov_b32_e32 v5, v223
	v_lshl_add_u64 v[4:5], v[4:5], 3, v[10:11]
	s_waitcnt lgkmcnt(0)
	global_store_dwordx2 v[4:5], v[0:1], off
	ds_read2_b64 v[4:7], v9 offset0:220 offset1:254
	v_add_u32_e32 v0, 0x1ba, v222
	v_mov_b32_e32 v1, v223
	v_lshl_add_u64 v[0:1], v[0:1], 3, v[10:11]
	global_store_dwordx2 v[0:1], v[2:3], off
	v_add_u32_e32 v0, 0x1dc, v222
	v_mov_b32_e32 v1, v223
	ds_read_b64 v[2:3], v8 offset:4352
	v_lshl_add_u64 v[0:1], v[0:1], 3, v[10:11]
	s_waitcnt lgkmcnt(1)
	global_store_dwordx2 v[0:1], v[4:5], off
	v_add_u32_e32 v0, 0x1fe, v222
	v_mov_b32_e32 v1, v223
	v_lshl_add_u64 v[0:1], v[0:1], 3, v[10:11]
	v_add_u32_e32 v222, 0x220, v222
	global_store_dwordx2 v[0:1], v[6:7], off
	v_lshl_add_u64 v[0:1], v[222:223], 3, v[10:11]
	s_waitcnt lgkmcnt(0)
	global_store_dwordx2 v[0:1], v[2:3], off
.LBB0_24:
	s_endpgm
	.section	.rodata,"a",@progbits
	.p2align	6, 0x0
	.amdhsa_kernel fft_rtc_back_len578_factors_17_17_2_wgs_238_tpt_34_halfLds_sp_ip_CI_unitstride_sbrr_C2R_dirReg
		.amdhsa_group_segment_fixed_size 0
		.amdhsa_private_segment_fixed_size 0
		.amdhsa_kernarg_size 88
		.amdhsa_user_sgpr_count 2
		.amdhsa_user_sgpr_dispatch_ptr 0
		.amdhsa_user_sgpr_queue_ptr 0
		.amdhsa_user_sgpr_kernarg_segment_ptr 1
		.amdhsa_user_sgpr_dispatch_id 0
		.amdhsa_user_sgpr_kernarg_preload_length 0
		.amdhsa_user_sgpr_kernarg_preload_offset 0
		.amdhsa_user_sgpr_private_segment_size 0
		.amdhsa_uses_dynamic_stack 0
		.amdhsa_enable_private_segment 0
		.amdhsa_system_sgpr_workgroup_id_x 1
		.amdhsa_system_sgpr_workgroup_id_y 0
		.amdhsa_system_sgpr_workgroup_id_z 0
		.amdhsa_system_sgpr_workgroup_info 0
		.amdhsa_system_vgpr_workitem_id 0
		.amdhsa_next_free_vgpr 278
		.amdhsa_next_free_sgpr 62
		.amdhsa_accum_offset 256
		.amdhsa_reserve_vcc 1
		.amdhsa_float_round_mode_32 0
		.amdhsa_float_round_mode_16_64 0
		.amdhsa_float_denorm_mode_32 3
		.amdhsa_float_denorm_mode_16_64 3
		.amdhsa_dx10_clamp 1
		.amdhsa_ieee_mode 1
		.amdhsa_fp16_overflow 0
		.amdhsa_tg_split 0
		.amdhsa_exception_fp_ieee_invalid_op 0
		.amdhsa_exception_fp_denorm_src 0
		.amdhsa_exception_fp_ieee_div_zero 0
		.amdhsa_exception_fp_ieee_overflow 0
		.amdhsa_exception_fp_ieee_underflow 0
		.amdhsa_exception_fp_ieee_inexact 0
		.amdhsa_exception_int_div_zero 0
	.end_amdhsa_kernel
	.text
.Lfunc_end0:
	.size	fft_rtc_back_len578_factors_17_17_2_wgs_238_tpt_34_halfLds_sp_ip_CI_unitstride_sbrr_C2R_dirReg, .Lfunc_end0-fft_rtc_back_len578_factors_17_17_2_wgs_238_tpt_34_halfLds_sp_ip_CI_unitstride_sbrr_C2R_dirReg
                                        ; -- End function
	.section	.AMDGPU.csdata,"",@progbits
; Kernel info:
; codeLenInByte = 13708
; NumSgprs: 68
; NumVgprs: 256
; NumAgprs: 22
; TotalNumVgprs: 278
; ScratchSize: 0
; MemoryBound: 0
; FloatMode: 240
; IeeeMode: 1
; LDSByteSize: 0 bytes/workgroup (compile time only)
; SGPRBlocks: 8
; VGPRBlocks: 34
; NumSGPRsForWavesPerEU: 68
; NumVGPRsForWavesPerEU: 278
; AccumOffset: 256
; Occupancy: 1
; WaveLimiterHint : 1
; COMPUTE_PGM_RSRC2:SCRATCH_EN: 0
; COMPUTE_PGM_RSRC2:USER_SGPR: 2
; COMPUTE_PGM_RSRC2:TRAP_HANDLER: 0
; COMPUTE_PGM_RSRC2:TGID_X_EN: 1
; COMPUTE_PGM_RSRC2:TGID_Y_EN: 0
; COMPUTE_PGM_RSRC2:TGID_Z_EN: 0
; COMPUTE_PGM_RSRC2:TIDIG_COMP_CNT: 0
; COMPUTE_PGM_RSRC3_GFX90A:ACCUM_OFFSET: 63
; COMPUTE_PGM_RSRC3_GFX90A:TG_SPLIT: 0
	.text
	.p2alignl 6, 3212836864
	.fill 256, 4, 3212836864
	.type	__hip_cuid_58c2eda36dcf869d,@object ; @__hip_cuid_58c2eda36dcf869d
	.section	.bss,"aw",@nobits
	.globl	__hip_cuid_58c2eda36dcf869d
__hip_cuid_58c2eda36dcf869d:
	.byte	0                               ; 0x0
	.size	__hip_cuid_58c2eda36dcf869d, 1

	.ident	"AMD clang version 19.0.0git (https://github.com/RadeonOpenCompute/llvm-project roc-6.4.0 25133 c7fe45cf4b819c5991fe208aaa96edf142730f1d)"
	.section	".note.GNU-stack","",@progbits
	.addrsig
	.addrsig_sym __hip_cuid_58c2eda36dcf869d
	.amdgpu_metadata
---
amdhsa.kernels:
  - .agpr_count:     22
    .args:
      - .actual_access:  read_only
        .address_space:  global
        .offset:         0
        .size:           8
        .value_kind:     global_buffer
      - .offset:         8
        .size:           8
        .value_kind:     by_value
      - .actual_access:  read_only
        .address_space:  global
        .offset:         16
        .size:           8
        .value_kind:     global_buffer
      - .actual_access:  read_only
        .address_space:  global
        .offset:         24
        .size:           8
        .value_kind:     global_buffer
      - .offset:         32
        .size:           8
        .value_kind:     by_value
      - .actual_access:  read_only
        .address_space:  global
        .offset:         40
        .size:           8
        .value_kind:     global_buffer
      - .actual_access:  read_only
        .address_space:  global
        .offset:         48
        .size:           8
        .value_kind:     global_buffer
      - .offset:         56
        .size:           4
        .value_kind:     by_value
      - .actual_access:  read_only
        .address_space:  global
        .offset:         64
        .size:           8
        .value_kind:     global_buffer
      - .actual_access:  read_only
        .address_space:  global
        .offset:         72
        .size:           8
        .value_kind:     global_buffer
      - .address_space:  global
        .offset:         80
        .size:           8
        .value_kind:     global_buffer
    .group_segment_fixed_size: 0
    .kernarg_segment_align: 8
    .kernarg_segment_size: 88
    .language:       OpenCL C
    .language_version:
      - 2
      - 0
    .max_flat_workgroup_size: 238
    .name:           fft_rtc_back_len578_factors_17_17_2_wgs_238_tpt_34_halfLds_sp_ip_CI_unitstride_sbrr_C2R_dirReg
    .private_segment_fixed_size: 0
    .sgpr_count:     68
    .sgpr_spill_count: 0
    .symbol:         fft_rtc_back_len578_factors_17_17_2_wgs_238_tpt_34_halfLds_sp_ip_CI_unitstride_sbrr_C2R_dirReg.kd
    .uniform_work_group_size: 1
    .uses_dynamic_stack: false
    .vgpr_count:     278
    .vgpr_spill_count: 0
    .wavefront_size: 64
amdhsa.target:   amdgcn-amd-amdhsa--gfx950
amdhsa.version:
  - 1
  - 2
...

	.end_amdgpu_metadata
